;; amdgpu-corpus repo=ROCm/rocThrust kind=compiled arch=gfx950 opt=O3
	.amdgcn_target "amdgcn-amd-amdhsa--gfx950"
	.amdhsa_code_object_version 6
	.section	.text._ZN6thrust23THRUST_200600_302600_NS11hip_rocprim14__parallel_for6kernelILj256ENS1_20__uninitialized_fill7functorINS0_10device_ptrIiEEiEEmLj1EEEvT0_T1_SA_,"axG",@progbits,_ZN6thrust23THRUST_200600_302600_NS11hip_rocprim14__parallel_for6kernelILj256ENS1_20__uninitialized_fill7functorINS0_10device_ptrIiEEiEEmLj1EEEvT0_T1_SA_,comdat
	.protected	_ZN6thrust23THRUST_200600_302600_NS11hip_rocprim14__parallel_for6kernelILj256ENS1_20__uninitialized_fill7functorINS0_10device_ptrIiEEiEEmLj1EEEvT0_T1_SA_ ; -- Begin function _ZN6thrust23THRUST_200600_302600_NS11hip_rocprim14__parallel_for6kernelILj256ENS1_20__uninitialized_fill7functorINS0_10device_ptrIiEEiEEmLj1EEEvT0_T1_SA_
	.globl	_ZN6thrust23THRUST_200600_302600_NS11hip_rocprim14__parallel_for6kernelILj256ENS1_20__uninitialized_fill7functorINS0_10device_ptrIiEEiEEmLj1EEEvT0_T1_SA_
	.p2align	8
	.type	_ZN6thrust23THRUST_200600_302600_NS11hip_rocprim14__parallel_for6kernelILj256ENS1_20__uninitialized_fill7functorINS0_10device_ptrIiEEiEEmLj1EEEvT0_T1_SA_,@function
_ZN6thrust23THRUST_200600_302600_NS11hip_rocprim14__parallel_for6kernelILj256ENS1_20__uninitialized_fill7functorINS0_10device_ptrIiEEiEEmLj1EEEvT0_T1_SA_: ; @_ZN6thrust23THRUST_200600_302600_NS11hip_rocprim14__parallel_for6kernelILj256ENS1_20__uninitialized_fill7functorINS0_10device_ptrIiEEiEEmLj1EEEvT0_T1_SA_
; %bb.0:
	s_load_dwordx4 s[12:15], s[0:1], 0x10
	s_load_dwordx2 s[4:5], s[0:1], 0x0
	s_load_dword s8, s[0:1], 0x8
	s_lshl_b32 s0, s2, 8
	v_mov_b64_e32 v[2:3], 0xff
	s_waitcnt lgkmcnt(0)
	s_add_u32 s0, s14, s0
	s_addc_u32 s1, s15, 0
	s_sub_u32 s2, s12, s0
	s_subb_u32 s3, s13, s1
	v_cmp_gt_u64_e32 vcc, s[2:3], v[2:3]
	s_mov_b64 s[6:7], -1
	s_cbranch_vccz .LBB0_3
; %bb.1:
	s_andn2_b64 vcc, exec, s[6:7]
	s_cbranch_vccz .LBB0_6
.LBB0_2:
	s_endpgm
.LBB0_3:
	v_cmp_gt_u32_e32 vcc, s2, v0
	s_and_saveexec_b64 s[2:3], vcc
	s_cbranch_execz .LBB0_5
; %bb.4:
	s_lshl_b64 s[6:7], s[0:1], 2
	s_add_u32 s6, s4, s6
	s_addc_u32 s7, s5, s7
	v_lshlrev_b32_e32 v2, 2, v0
	v_mov_b32_e32 v3, 0
	v_lshl_add_u64 v[2:3], s[6:7], 0, v[2:3]
	v_mov_b32_e32 v1, s8
	flat_store_dword v[2:3], v1
.LBB0_5:
	s_or_b64 exec, exec, s[2:3]
	s_cbranch_execnz .LBB0_2
.LBB0_6:
	s_lshl_b64 s[0:1], s[0:1], 2
	s_add_u32 s0, s4, s0
	s_addc_u32 s1, s5, s1
	v_lshlrev_b32_e32 v0, 2, v0
	v_mov_b32_e32 v1, 0
	v_lshl_add_u64 v[0:1], s[0:1], 0, v[0:1]
	v_mov_b32_e32 v2, s8
	flat_store_dword v[0:1], v2
	s_endpgm
	.section	.rodata,"a",@progbits
	.p2align	6, 0x0
	.amdhsa_kernel _ZN6thrust23THRUST_200600_302600_NS11hip_rocprim14__parallel_for6kernelILj256ENS1_20__uninitialized_fill7functorINS0_10device_ptrIiEEiEEmLj1EEEvT0_T1_SA_
		.amdhsa_group_segment_fixed_size 0
		.amdhsa_private_segment_fixed_size 0
		.amdhsa_kernarg_size 32
		.amdhsa_user_sgpr_count 2
		.amdhsa_user_sgpr_dispatch_ptr 0
		.amdhsa_user_sgpr_queue_ptr 0
		.amdhsa_user_sgpr_kernarg_segment_ptr 1
		.amdhsa_user_sgpr_dispatch_id 0
		.amdhsa_user_sgpr_kernarg_preload_length 0
		.amdhsa_user_sgpr_kernarg_preload_offset 0
		.amdhsa_user_sgpr_private_segment_size 0
		.amdhsa_uses_dynamic_stack 0
		.amdhsa_enable_private_segment 0
		.amdhsa_system_sgpr_workgroup_id_x 1
		.amdhsa_system_sgpr_workgroup_id_y 0
		.amdhsa_system_sgpr_workgroup_id_z 0
		.amdhsa_system_sgpr_workgroup_info 0
		.amdhsa_system_vgpr_workitem_id 0
		.amdhsa_next_free_vgpr 4
		.amdhsa_next_free_sgpr 16
		.amdhsa_accum_offset 4
		.amdhsa_reserve_vcc 1
		.amdhsa_float_round_mode_32 0
		.amdhsa_float_round_mode_16_64 0
		.amdhsa_float_denorm_mode_32 3
		.amdhsa_float_denorm_mode_16_64 3
		.amdhsa_dx10_clamp 1
		.amdhsa_ieee_mode 1
		.amdhsa_fp16_overflow 0
		.amdhsa_tg_split 0
		.amdhsa_exception_fp_ieee_invalid_op 0
		.amdhsa_exception_fp_denorm_src 0
		.amdhsa_exception_fp_ieee_div_zero 0
		.amdhsa_exception_fp_ieee_overflow 0
		.amdhsa_exception_fp_ieee_underflow 0
		.amdhsa_exception_fp_ieee_inexact 0
		.amdhsa_exception_int_div_zero 0
	.end_amdhsa_kernel
	.section	.text._ZN6thrust23THRUST_200600_302600_NS11hip_rocprim14__parallel_for6kernelILj256ENS1_20__uninitialized_fill7functorINS0_10device_ptrIiEEiEEmLj1EEEvT0_T1_SA_,"axG",@progbits,_ZN6thrust23THRUST_200600_302600_NS11hip_rocprim14__parallel_for6kernelILj256ENS1_20__uninitialized_fill7functorINS0_10device_ptrIiEEiEEmLj1EEEvT0_T1_SA_,comdat
.Lfunc_end0:
	.size	_ZN6thrust23THRUST_200600_302600_NS11hip_rocprim14__parallel_for6kernelILj256ENS1_20__uninitialized_fill7functorINS0_10device_ptrIiEEiEEmLj1EEEvT0_T1_SA_, .Lfunc_end0-_ZN6thrust23THRUST_200600_302600_NS11hip_rocprim14__parallel_for6kernelILj256ENS1_20__uninitialized_fill7functorINS0_10device_ptrIiEEiEEmLj1EEEvT0_T1_SA_
                                        ; -- End function
	.set _ZN6thrust23THRUST_200600_302600_NS11hip_rocprim14__parallel_for6kernelILj256ENS1_20__uninitialized_fill7functorINS0_10device_ptrIiEEiEEmLj1EEEvT0_T1_SA_.num_vgpr, 4
	.set _ZN6thrust23THRUST_200600_302600_NS11hip_rocprim14__parallel_for6kernelILj256ENS1_20__uninitialized_fill7functorINS0_10device_ptrIiEEiEEmLj1EEEvT0_T1_SA_.num_agpr, 0
	.set _ZN6thrust23THRUST_200600_302600_NS11hip_rocprim14__parallel_for6kernelILj256ENS1_20__uninitialized_fill7functorINS0_10device_ptrIiEEiEEmLj1EEEvT0_T1_SA_.numbered_sgpr, 16
	.set _ZN6thrust23THRUST_200600_302600_NS11hip_rocprim14__parallel_for6kernelILj256ENS1_20__uninitialized_fill7functorINS0_10device_ptrIiEEiEEmLj1EEEvT0_T1_SA_.num_named_barrier, 0
	.set _ZN6thrust23THRUST_200600_302600_NS11hip_rocprim14__parallel_for6kernelILj256ENS1_20__uninitialized_fill7functorINS0_10device_ptrIiEEiEEmLj1EEEvT0_T1_SA_.private_seg_size, 0
	.set _ZN6thrust23THRUST_200600_302600_NS11hip_rocprim14__parallel_for6kernelILj256ENS1_20__uninitialized_fill7functorINS0_10device_ptrIiEEiEEmLj1EEEvT0_T1_SA_.uses_vcc, 1
	.set _ZN6thrust23THRUST_200600_302600_NS11hip_rocprim14__parallel_for6kernelILj256ENS1_20__uninitialized_fill7functorINS0_10device_ptrIiEEiEEmLj1EEEvT0_T1_SA_.uses_flat_scratch, 0
	.set _ZN6thrust23THRUST_200600_302600_NS11hip_rocprim14__parallel_for6kernelILj256ENS1_20__uninitialized_fill7functorINS0_10device_ptrIiEEiEEmLj1EEEvT0_T1_SA_.has_dyn_sized_stack, 0
	.set _ZN6thrust23THRUST_200600_302600_NS11hip_rocprim14__parallel_for6kernelILj256ENS1_20__uninitialized_fill7functorINS0_10device_ptrIiEEiEEmLj1EEEvT0_T1_SA_.has_recursion, 0
	.set _ZN6thrust23THRUST_200600_302600_NS11hip_rocprim14__parallel_for6kernelILj256ENS1_20__uninitialized_fill7functorINS0_10device_ptrIiEEiEEmLj1EEEvT0_T1_SA_.has_indirect_call, 0
	.section	.AMDGPU.csdata,"",@progbits
; Kernel info:
; codeLenInByte = 184
; TotalNumSgprs: 22
; NumVgprs: 4
; NumAgprs: 0
; TotalNumVgprs: 4
; ScratchSize: 0
; MemoryBound: 0
; FloatMode: 240
; IeeeMode: 1
; LDSByteSize: 0 bytes/workgroup (compile time only)
; SGPRBlocks: 2
; VGPRBlocks: 0
; NumSGPRsForWavesPerEU: 22
; NumVGPRsForWavesPerEU: 4
; AccumOffset: 4
; Occupancy: 8
; WaveLimiterHint : 0
; COMPUTE_PGM_RSRC2:SCRATCH_EN: 0
; COMPUTE_PGM_RSRC2:USER_SGPR: 2
; COMPUTE_PGM_RSRC2:TRAP_HANDLER: 0
; COMPUTE_PGM_RSRC2:TGID_X_EN: 1
; COMPUTE_PGM_RSRC2:TGID_Y_EN: 0
; COMPUTE_PGM_RSRC2:TGID_Z_EN: 0
; COMPUTE_PGM_RSRC2:TIDIG_COMP_CNT: 0
; COMPUTE_PGM_RSRC3_GFX90A:ACCUM_OFFSET: 0
; COMPUTE_PGM_RSRC3_GFX90A:TG_SPLIT: 0
	.section	.text._ZN7rocprim17ROCPRIM_400000_NS6detail17trampoline_kernelINS0_14default_configENS1_21merge_config_selectorIiNS0_10empty_typeEEEZNS1_10merge_implIS3_N6thrust23THRUST_200600_302600_NS6detail15normal_iteratorINS9_10device_ptrIKiEEEESF_NSB_INSC_IiEEEEPS5_SI_SI_NS9_4lessIiEEEE10hipError_tPvRmT0_T1_T2_T3_T4_T5_mmT6_P12ihipStream_tbEUlT_E_NS1_11comp_targetILNS1_3genE0ELNS1_11target_archE4294967295ELNS1_3gpuE0ELNS1_3repE0EEENS1_30default_config_static_selectorELNS0_4arch9wavefront6targetE1EEEvSP_,"axG",@progbits,_ZN7rocprim17ROCPRIM_400000_NS6detail17trampoline_kernelINS0_14default_configENS1_21merge_config_selectorIiNS0_10empty_typeEEEZNS1_10merge_implIS3_N6thrust23THRUST_200600_302600_NS6detail15normal_iteratorINS9_10device_ptrIKiEEEESF_NSB_INSC_IiEEEEPS5_SI_SI_NS9_4lessIiEEEE10hipError_tPvRmT0_T1_T2_T3_T4_T5_mmT6_P12ihipStream_tbEUlT_E_NS1_11comp_targetILNS1_3genE0ELNS1_11target_archE4294967295ELNS1_3gpuE0ELNS1_3repE0EEENS1_30default_config_static_selectorELNS0_4arch9wavefront6targetE1EEEvSP_,comdat
	.protected	_ZN7rocprim17ROCPRIM_400000_NS6detail17trampoline_kernelINS0_14default_configENS1_21merge_config_selectorIiNS0_10empty_typeEEEZNS1_10merge_implIS3_N6thrust23THRUST_200600_302600_NS6detail15normal_iteratorINS9_10device_ptrIKiEEEESF_NSB_INSC_IiEEEEPS5_SI_SI_NS9_4lessIiEEEE10hipError_tPvRmT0_T1_T2_T3_T4_T5_mmT6_P12ihipStream_tbEUlT_E_NS1_11comp_targetILNS1_3genE0ELNS1_11target_archE4294967295ELNS1_3gpuE0ELNS1_3repE0EEENS1_30default_config_static_selectorELNS0_4arch9wavefront6targetE1EEEvSP_ ; -- Begin function _ZN7rocprim17ROCPRIM_400000_NS6detail17trampoline_kernelINS0_14default_configENS1_21merge_config_selectorIiNS0_10empty_typeEEEZNS1_10merge_implIS3_N6thrust23THRUST_200600_302600_NS6detail15normal_iteratorINS9_10device_ptrIKiEEEESF_NSB_INSC_IiEEEEPS5_SI_SI_NS9_4lessIiEEEE10hipError_tPvRmT0_T1_T2_T3_T4_T5_mmT6_P12ihipStream_tbEUlT_E_NS1_11comp_targetILNS1_3genE0ELNS1_11target_archE4294967295ELNS1_3gpuE0ELNS1_3repE0EEENS1_30default_config_static_selectorELNS0_4arch9wavefront6targetE1EEEvSP_
	.globl	_ZN7rocprim17ROCPRIM_400000_NS6detail17trampoline_kernelINS0_14default_configENS1_21merge_config_selectorIiNS0_10empty_typeEEEZNS1_10merge_implIS3_N6thrust23THRUST_200600_302600_NS6detail15normal_iteratorINS9_10device_ptrIKiEEEESF_NSB_INSC_IiEEEEPS5_SI_SI_NS9_4lessIiEEEE10hipError_tPvRmT0_T1_T2_T3_T4_T5_mmT6_P12ihipStream_tbEUlT_E_NS1_11comp_targetILNS1_3genE0ELNS1_11target_archE4294967295ELNS1_3gpuE0ELNS1_3repE0EEENS1_30default_config_static_selectorELNS0_4arch9wavefront6targetE1EEEvSP_
	.p2align	8
	.type	_ZN7rocprim17ROCPRIM_400000_NS6detail17trampoline_kernelINS0_14default_configENS1_21merge_config_selectorIiNS0_10empty_typeEEEZNS1_10merge_implIS3_N6thrust23THRUST_200600_302600_NS6detail15normal_iteratorINS9_10device_ptrIKiEEEESF_NSB_INSC_IiEEEEPS5_SI_SI_NS9_4lessIiEEEE10hipError_tPvRmT0_T1_T2_T3_T4_T5_mmT6_P12ihipStream_tbEUlT_E_NS1_11comp_targetILNS1_3genE0ELNS1_11target_archE4294967295ELNS1_3gpuE0ELNS1_3repE0EEENS1_30default_config_static_selectorELNS0_4arch9wavefront6targetE1EEEvSP_,@function
_ZN7rocprim17ROCPRIM_400000_NS6detail17trampoline_kernelINS0_14default_configENS1_21merge_config_selectorIiNS0_10empty_typeEEEZNS1_10merge_implIS3_N6thrust23THRUST_200600_302600_NS6detail15normal_iteratorINS9_10device_ptrIKiEEEESF_NSB_INSC_IiEEEEPS5_SI_SI_NS9_4lessIiEEEE10hipError_tPvRmT0_T1_T2_T3_T4_T5_mmT6_P12ihipStream_tbEUlT_E_NS1_11comp_targetILNS1_3genE0ELNS1_11target_archE4294967295ELNS1_3gpuE0ELNS1_3repE0EEENS1_30default_config_static_selectorELNS0_4arch9wavefront6targetE1EEEvSP_: ; @_ZN7rocprim17ROCPRIM_400000_NS6detail17trampoline_kernelINS0_14default_configENS1_21merge_config_selectorIiNS0_10empty_typeEEEZNS1_10merge_implIS3_N6thrust23THRUST_200600_302600_NS6detail15normal_iteratorINS9_10device_ptrIKiEEEESF_NSB_INSC_IiEEEEPS5_SI_SI_NS9_4lessIiEEEE10hipError_tPvRmT0_T1_T2_T3_T4_T5_mmT6_P12ihipStream_tbEUlT_E_NS1_11comp_targetILNS1_3genE0ELNS1_11target_archE4294967295ELNS1_3gpuE0ELNS1_3repE0EEENS1_30default_config_static_selectorELNS0_4arch9wavefront6targetE1EEEvSP_
; %bb.0:
	s_load_dword s3, s[0:1], 0x28
	s_load_dwordx2 s[12:13], s[0:1], 0x20
	s_load_dword s14, s[0:1], 0x3c
	s_load_dwordx8 s[4:11], s[0:1], 0x0
	s_waitcnt lgkmcnt(0)
	v_cvt_f32_u32_e32 v1, s3
	s_and_b32 s1, s14, 0xffff
	s_add_u32 s0, s12, s10
	v_rcp_iflag_f32_e32 v1, v1
	s_mul_i32 s2, s2, s1
	s_addc_u32 s1, s13, s11
	s_sub_i32 s14, 0, s3
	v_mul_f32_e32 v1, 0x4f7ffffe, v1
	v_cvt_u32_f32_e32 v1, v1
	v_add_u32_e32 v0, s2, v0
	s_add_i32 s2, s3, s0
	s_add_i32 s2, s2, -1
	v_readfirstlane_b32 s15, v1
	s_mul_i32 s14, s14, s15
	s_mul_hi_u32 s14, s15, s14
	s_add_i32 s15, s15, s14
	s_mul_hi_u32 s14, s2, s15
	s_mul_i32 s15, s14, s3
	s_sub_i32 s2, s2, s15
	s_add_i32 s15, s14, 1
	s_sub_i32 s16, s2, s3
	s_cmp_ge_u32 s2, s3
	s_cselect_b32 s14, s15, s14
	s_cselect_b32 s2, s16, s2
	s_add_i32 s15, s14, 1
	s_cmp_ge_u32 s2, s3
	s_cselect_b32 s2, s15, s14
	v_cmp_ge_u32_e32 vcc, s2, v0
	s_and_saveexec_b64 s[14:15], vcc
	s_cbranch_execz .LBB1_6
; %bb.1:
	v_mul_lo_u32 v2, v0, s3
	v_mov_b32_e32 v3, 0
	v_mov_b32_e32 v1, s1
	v_cmp_gt_u64_e32 vcc, s[0:1], v[2:3]
	s_nop 1
	v_cndmask_b32_e64 v7, v1, 0, vcc
	v_mov_b32_e32 v1, s0
	v_cndmask_b32_e32 v6, v1, v2, vcc
	v_mov_b32_e32 v1, s13
	v_subrev_co_u32_e32 v2, vcc, s12, v6
	s_nop 1
	v_subb_co_u32_e32 v3, vcc, v7, v1, vcc
	v_cmp_gt_u64_e32 vcc, v[2:3], v[6:7]
	v_mov_b32_e32 v1, s11
	s_nop 0
	v_cndmask_b32_e64 v3, v3, 0, vcc
	v_cndmask_b32_e64 v2, v2, 0, vcc
	v_cmp_gt_u64_e32 vcc, s[10:11], v[6:7]
	s_nop 1
	v_cndmask_b32_e32 v5, v1, v7, vcc
	v_mov_b32_e32 v1, s10
	v_cndmask_b32_e32 v4, v1, v6, vcc
	v_cmp_lt_u64_e32 vcc, v[2:3], v[4:5]
	s_and_saveexec_b64 s[0:1], vcc
	s_cbranch_execz .LBB1_5
; %bb.2:
	v_mov_b32_e32 v8, s8
	v_mov_b32_e32 v9, s9
	v_lshl_add_u64 v[6:7], v[6:7], 2, v[8:9]
	s_mov_b64 s[2:3], 0
.LBB1_3:                                ; =>This Inner Loop Header: Depth=1
	v_lshl_add_u64 v[8:9], v[4:5], 0, v[2:3]
	v_lshrrev_b64 v[8:9], 1, v[8:9]
	v_lshlrev_b64 v[10:11], 2, v[8:9]
	v_lshl_add_u64 v[12:13], s[6:7], 0, v[10:11]
	v_xor_b32_e32 v11, -1, v11
	v_xor_b32_e32 v10, -4, v10
	v_lshl_add_u64 v[10:11], v[6:7], 0, v[10:11]
	global_load_dword v1, v[12:13], off
	s_nop 0
	global_load_dword v12, v[10:11], off
	v_lshl_add_u64 v[10:11], v[8:9], 0, 1
	s_waitcnt vmcnt(0)
	v_cmp_lt_i32_e32 vcc, v12, v1
	s_nop 1
	v_cndmask_b32_e32 v5, v5, v9, vcc
	v_cndmask_b32_e32 v4, v4, v8, vcc
	;; [unrolled: 1-line block ×4, first 2 shown]
	v_cmp_ge_u64_e32 vcc, v[2:3], v[4:5]
	s_or_b64 s[2:3], vcc, s[2:3]
	s_andn2_b64 exec, exec, s[2:3]
	s_cbranch_execnz .LBB1_3
; %bb.4:
	s_or_b64 exec, exec, s[2:3]
.LBB1_5:
	s_or_b64 exec, exec, s[0:1]
	v_mov_b32_e32 v4, s4
	v_mov_b32_e32 v5, s5
	;; [unrolled: 1-line block ×3, first 2 shown]
	v_lshl_add_u64 v[0:1], v[0:1], 2, v[4:5]
	global_store_dword v[0:1], v2, off
.LBB1_6:
	s_endpgm
	.section	.rodata,"a",@progbits
	.p2align	6, 0x0
	.amdhsa_kernel _ZN7rocprim17ROCPRIM_400000_NS6detail17trampoline_kernelINS0_14default_configENS1_21merge_config_selectorIiNS0_10empty_typeEEEZNS1_10merge_implIS3_N6thrust23THRUST_200600_302600_NS6detail15normal_iteratorINS9_10device_ptrIKiEEEESF_NSB_INSC_IiEEEEPS5_SI_SI_NS9_4lessIiEEEE10hipError_tPvRmT0_T1_T2_T3_T4_T5_mmT6_P12ihipStream_tbEUlT_E_NS1_11comp_targetILNS1_3genE0ELNS1_11target_archE4294967295ELNS1_3gpuE0ELNS1_3repE0EEENS1_30default_config_static_selectorELNS0_4arch9wavefront6targetE1EEEvSP_
		.amdhsa_group_segment_fixed_size 0
		.amdhsa_private_segment_fixed_size 0
		.amdhsa_kernarg_size 304
		.amdhsa_user_sgpr_count 2
		.amdhsa_user_sgpr_dispatch_ptr 0
		.amdhsa_user_sgpr_queue_ptr 0
		.amdhsa_user_sgpr_kernarg_segment_ptr 1
		.amdhsa_user_sgpr_dispatch_id 0
		.amdhsa_user_sgpr_kernarg_preload_length 0
		.amdhsa_user_sgpr_kernarg_preload_offset 0
		.amdhsa_user_sgpr_private_segment_size 0
		.amdhsa_uses_dynamic_stack 0
		.amdhsa_enable_private_segment 0
		.amdhsa_system_sgpr_workgroup_id_x 1
		.amdhsa_system_sgpr_workgroup_id_y 0
		.amdhsa_system_sgpr_workgroup_id_z 0
		.amdhsa_system_sgpr_workgroup_info 0
		.amdhsa_system_vgpr_workitem_id 0
		.amdhsa_next_free_vgpr 14
		.amdhsa_next_free_sgpr 17
		.amdhsa_accum_offset 16
		.amdhsa_reserve_vcc 1
		.amdhsa_float_round_mode_32 0
		.amdhsa_float_round_mode_16_64 0
		.amdhsa_float_denorm_mode_32 3
		.amdhsa_float_denorm_mode_16_64 3
		.amdhsa_dx10_clamp 1
		.amdhsa_ieee_mode 1
		.amdhsa_fp16_overflow 0
		.amdhsa_tg_split 0
		.amdhsa_exception_fp_ieee_invalid_op 0
		.amdhsa_exception_fp_denorm_src 0
		.amdhsa_exception_fp_ieee_div_zero 0
		.amdhsa_exception_fp_ieee_overflow 0
		.amdhsa_exception_fp_ieee_underflow 0
		.amdhsa_exception_fp_ieee_inexact 0
		.amdhsa_exception_int_div_zero 0
	.end_amdhsa_kernel
	.section	.text._ZN7rocprim17ROCPRIM_400000_NS6detail17trampoline_kernelINS0_14default_configENS1_21merge_config_selectorIiNS0_10empty_typeEEEZNS1_10merge_implIS3_N6thrust23THRUST_200600_302600_NS6detail15normal_iteratorINS9_10device_ptrIKiEEEESF_NSB_INSC_IiEEEEPS5_SI_SI_NS9_4lessIiEEEE10hipError_tPvRmT0_T1_T2_T3_T4_T5_mmT6_P12ihipStream_tbEUlT_E_NS1_11comp_targetILNS1_3genE0ELNS1_11target_archE4294967295ELNS1_3gpuE0ELNS1_3repE0EEENS1_30default_config_static_selectorELNS0_4arch9wavefront6targetE1EEEvSP_,"axG",@progbits,_ZN7rocprim17ROCPRIM_400000_NS6detail17trampoline_kernelINS0_14default_configENS1_21merge_config_selectorIiNS0_10empty_typeEEEZNS1_10merge_implIS3_N6thrust23THRUST_200600_302600_NS6detail15normal_iteratorINS9_10device_ptrIKiEEEESF_NSB_INSC_IiEEEEPS5_SI_SI_NS9_4lessIiEEEE10hipError_tPvRmT0_T1_T2_T3_T4_T5_mmT6_P12ihipStream_tbEUlT_E_NS1_11comp_targetILNS1_3genE0ELNS1_11target_archE4294967295ELNS1_3gpuE0ELNS1_3repE0EEENS1_30default_config_static_selectorELNS0_4arch9wavefront6targetE1EEEvSP_,comdat
.Lfunc_end1:
	.size	_ZN7rocprim17ROCPRIM_400000_NS6detail17trampoline_kernelINS0_14default_configENS1_21merge_config_selectorIiNS0_10empty_typeEEEZNS1_10merge_implIS3_N6thrust23THRUST_200600_302600_NS6detail15normal_iteratorINS9_10device_ptrIKiEEEESF_NSB_INSC_IiEEEEPS5_SI_SI_NS9_4lessIiEEEE10hipError_tPvRmT0_T1_T2_T3_T4_T5_mmT6_P12ihipStream_tbEUlT_E_NS1_11comp_targetILNS1_3genE0ELNS1_11target_archE4294967295ELNS1_3gpuE0ELNS1_3repE0EEENS1_30default_config_static_selectorELNS0_4arch9wavefront6targetE1EEEvSP_, .Lfunc_end1-_ZN7rocprim17ROCPRIM_400000_NS6detail17trampoline_kernelINS0_14default_configENS1_21merge_config_selectorIiNS0_10empty_typeEEEZNS1_10merge_implIS3_N6thrust23THRUST_200600_302600_NS6detail15normal_iteratorINS9_10device_ptrIKiEEEESF_NSB_INSC_IiEEEEPS5_SI_SI_NS9_4lessIiEEEE10hipError_tPvRmT0_T1_T2_T3_T4_T5_mmT6_P12ihipStream_tbEUlT_E_NS1_11comp_targetILNS1_3genE0ELNS1_11target_archE4294967295ELNS1_3gpuE0ELNS1_3repE0EEENS1_30default_config_static_selectorELNS0_4arch9wavefront6targetE1EEEvSP_
                                        ; -- End function
	.set _ZN7rocprim17ROCPRIM_400000_NS6detail17trampoline_kernelINS0_14default_configENS1_21merge_config_selectorIiNS0_10empty_typeEEEZNS1_10merge_implIS3_N6thrust23THRUST_200600_302600_NS6detail15normal_iteratorINS9_10device_ptrIKiEEEESF_NSB_INSC_IiEEEEPS5_SI_SI_NS9_4lessIiEEEE10hipError_tPvRmT0_T1_T2_T3_T4_T5_mmT6_P12ihipStream_tbEUlT_E_NS1_11comp_targetILNS1_3genE0ELNS1_11target_archE4294967295ELNS1_3gpuE0ELNS1_3repE0EEENS1_30default_config_static_selectorELNS0_4arch9wavefront6targetE1EEEvSP_.num_vgpr, 14
	.set _ZN7rocprim17ROCPRIM_400000_NS6detail17trampoline_kernelINS0_14default_configENS1_21merge_config_selectorIiNS0_10empty_typeEEEZNS1_10merge_implIS3_N6thrust23THRUST_200600_302600_NS6detail15normal_iteratorINS9_10device_ptrIKiEEEESF_NSB_INSC_IiEEEEPS5_SI_SI_NS9_4lessIiEEEE10hipError_tPvRmT0_T1_T2_T3_T4_T5_mmT6_P12ihipStream_tbEUlT_E_NS1_11comp_targetILNS1_3genE0ELNS1_11target_archE4294967295ELNS1_3gpuE0ELNS1_3repE0EEENS1_30default_config_static_selectorELNS0_4arch9wavefront6targetE1EEEvSP_.num_agpr, 0
	.set _ZN7rocprim17ROCPRIM_400000_NS6detail17trampoline_kernelINS0_14default_configENS1_21merge_config_selectorIiNS0_10empty_typeEEEZNS1_10merge_implIS3_N6thrust23THRUST_200600_302600_NS6detail15normal_iteratorINS9_10device_ptrIKiEEEESF_NSB_INSC_IiEEEEPS5_SI_SI_NS9_4lessIiEEEE10hipError_tPvRmT0_T1_T2_T3_T4_T5_mmT6_P12ihipStream_tbEUlT_E_NS1_11comp_targetILNS1_3genE0ELNS1_11target_archE4294967295ELNS1_3gpuE0ELNS1_3repE0EEENS1_30default_config_static_selectorELNS0_4arch9wavefront6targetE1EEEvSP_.numbered_sgpr, 17
	.set _ZN7rocprim17ROCPRIM_400000_NS6detail17trampoline_kernelINS0_14default_configENS1_21merge_config_selectorIiNS0_10empty_typeEEEZNS1_10merge_implIS3_N6thrust23THRUST_200600_302600_NS6detail15normal_iteratorINS9_10device_ptrIKiEEEESF_NSB_INSC_IiEEEEPS5_SI_SI_NS9_4lessIiEEEE10hipError_tPvRmT0_T1_T2_T3_T4_T5_mmT6_P12ihipStream_tbEUlT_E_NS1_11comp_targetILNS1_3genE0ELNS1_11target_archE4294967295ELNS1_3gpuE0ELNS1_3repE0EEENS1_30default_config_static_selectorELNS0_4arch9wavefront6targetE1EEEvSP_.num_named_barrier, 0
	.set _ZN7rocprim17ROCPRIM_400000_NS6detail17trampoline_kernelINS0_14default_configENS1_21merge_config_selectorIiNS0_10empty_typeEEEZNS1_10merge_implIS3_N6thrust23THRUST_200600_302600_NS6detail15normal_iteratorINS9_10device_ptrIKiEEEESF_NSB_INSC_IiEEEEPS5_SI_SI_NS9_4lessIiEEEE10hipError_tPvRmT0_T1_T2_T3_T4_T5_mmT6_P12ihipStream_tbEUlT_E_NS1_11comp_targetILNS1_3genE0ELNS1_11target_archE4294967295ELNS1_3gpuE0ELNS1_3repE0EEENS1_30default_config_static_selectorELNS0_4arch9wavefront6targetE1EEEvSP_.private_seg_size, 0
	.set _ZN7rocprim17ROCPRIM_400000_NS6detail17trampoline_kernelINS0_14default_configENS1_21merge_config_selectorIiNS0_10empty_typeEEEZNS1_10merge_implIS3_N6thrust23THRUST_200600_302600_NS6detail15normal_iteratorINS9_10device_ptrIKiEEEESF_NSB_INSC_IiEEEEPS5_SI_SI_NS9_4lessIiEEEE10hipError_tPvRmT0_T1_T2_T3_T4_T5_mmT6_P12ihipStream_tbEUlT_E_NS1_11comp_targetILNS1_3genE0ELNS1_11target_archE4294967295ELNS1_3gpuE0ELNS1_3repE0EEENS1_30default_config_static_selectorELNS0_4arch9wavefront6targetE1EEEvSP_.uses_vcc, 1
	.set _ZN7rocprim17ROCPRIM_400000_NS6detail17trampoline_kernelINS0_14default_configENS1_21merge_config_selectorIiNS0_10empty_typeEEEZNS1_10merge_implIS3_N6thrust23THRUST_200600_302600_NS6detail15normal_iteratorINS9_10device_ptrIKiEEEESF_NSB_INSC_IiEEEEPS5_SI_SI_NS9_4lessIiEEEE10hipError_tPvRmT0_T1_T2_T3_T4_T5_mmT6_P12ihipStream_tbEUlT_E_NS1_11comp_targetILNS1_3genE0ELNS1_11target_archE4294967295ELNS1_3gpuE0ELNS1_3repE0EEENS1_30default_config_static_selectorELNS0_4arch9wavefront6targetE1EEEvSP_.uses_flat_scratch, 0
	.set _ZN7rocprim17ROCPRIM_400000_NS6detail17trampoline_kernelINS0_14default_configENS1_21merge_config_selectorIiNS0_10empty_typeEEEZNS1_10merge_implIS3_N6thrust23THRUST_200600_302600_NS6detail15normal_iteratorINS9_10device_ptrIKiEEEESF_NSB_INSC_IiEEEEPS5_SI_SI_NS9_4lessIiEEEE10hipError_tPvRmT0_T1_T2_T3_T4_T5_mmT6_P12ihipStream_tbEUlT_E_NS1_11comp_targetILNS1_3genE0ELNS1_11target_archE4294967295ELNS1_3gpuE0ELNS1_3repE0EEENS1_30default_config_static_selectorELNS0_4arch9wavefront6targetE1EEEvSP_.has_dyn_sized_stack, 0
	.set _ZN7rocprim17ROCPRIM_400000_NS6detail17trampoline_kernelINS0_14default_configENS1_21merge_config_selectorIiNS0_10empty_typeEEEZNS1_10merge_implIS3_N6thrust23THRUST_200600_302600_NS6detail15normal_iteratorINS9_10device_ptrIKiEEEESF_NSB_INSC_IiEEEEPS5_SI_SI_NS9_4lessIiEEEE10hipError_tPvRmT0_T1_T2_T3_T4_T5_mmT6_P12ihipStream_tbEUlT_E_NS1_11comp_targetILNS1_3genE0ELNS1_11target_archE4294967295ELNS1_3gpuE0ELNS1_3repE0EEENS1_30default_config_static_selectorELNS0_4arch9wavefront6targetE1EEEvSP_.has_recursion, 0
	.set _ZN7rocprim17ROCPRIM_400000_NS6detail17trampoline_kernelINS0_14default_configENS1_21merge_config_selectorIiNS0_10empty_typeEEEZNS1_10merge_implIS3_N6thrust23THRUST_200600_302600_NS6detail15normal_iteratorINS9_10device_ptrIKiEEEESF_NSB_INSC_IiEEEEPS5_SI_SI_NS9_4lessIiEEEE10hipError_tPvRmT0_T1_T2_T3_T4_T5_mmT6_P12ihipStream_tbEUlT_E_NS1_11comp_targetILNS1_3genE0ELNS1_11target_archE4294967295ELNS1_3gpuE0ELNS1_3repE0EEENS1_30default_config_static_selectorELNS0_4arch9wavefront6targetE1EEEvSP_.has_indirect_call, 0
	.section	.AMDGPU.csdata,"",@progbits
; Kernel info:
; codeLenInByte = 460
; TotalNumSgprs: 23
; NumVgprs: 14
; NumAgprs: 0
; TotalNumVgprs: 14
; ScratchSize: 0
; MemoryBound: 0
; FloatMode: 240
; IeeeMode: 1
; LDSByteSize: 0 bytes/workgroup (compile time only)
; SGPRBlocks: 2
; VGPRBlocks: 1
; NumSGPRsForWavesPerEU: 23
; NumVGPRsForWavesPerEU: 14
; AccumOffset: 16
; Occupancy: 8
; WaveLimiterHint : 0
; COMPUTE_PGM_RSRC2:SCRATCH_EN: 0
; COMPUTE_PGM_RSRC2:USER_SGPR: 2
; COMPUTE_PGM_RSRC2:TRAP_HANDLER: 0
; COMPUTE_PGM_RSRC2:TGID_X_EN: 1
; COMPUTE_PGM_RSRC2:TGID_Y_EN: 0
; COMPUTE_PGM_RSRC2:TGID_Z_EN: 0
; COMPUTE_PGM_RSRC2:TIDIG_COMP_CNT: 0
; COMPUTE_PGM_RSRC3_GFX90A:ACCUM_OFFSET: 3
; COMPUTE_PGM_RSRC3_GFX90A:TG_SPLIT: 0
	.section	.text._ZN7rocprim17ROCPRIM_400000_NS6detail17trampoline_kernelINS0_14default_configENS1_21merge_config_selectorIiNS0_10empty_typeEEEZNS1_10merge_implIS3_N6thrust23THRUST_200600_302600_NS6detail15normal_iteratorINS9_10device_ptrIKiEEEESF_NSB_INSC_IiEEEEPS5_SI_SI_NS9_4lessIiEEEE10hipError_tPvRmT0_T1_T2_T3_T4_T5_mmT6_P12ihipStream_tbEUlT_E_NS1_11comp_targetILNS1_3genE5ELNS1_11target_archE942ELNS1_3gpuE9ELNS1_3repE0EEENS1_30default_config_static_selectorELNS0_4arch9wavefront6targetE1EEEvSP_,"axG",@progbits,_ZN7rocprim17ROCPRIM_400000_NS6detail17trampoline_kernelINS0_14default_configENS1_21merge_config_selectorIiNS0_10empty_typeEEEZNS1_10merge_implIS3_N6thrust23THRUST_200600_302600_NS6detail15normal_iteratorINS9_10device_ptrIKiEEEESF_NSB_INSC_IiEEEEPS5_SI_SI_NS9_4lessIiEEEE10hipError_tPvRmT0_T1_T2_T3_T4_T5_mmT6_P12ihipStream_tbEUlT_E_NS1_11comp_targetILNS1_3genE5ELNS1_11target_archE942ELNS1_3gpuE9ELNS1_3repE0EEENS1_30default_config_static_selectorELNS0_4arch9wavefront6targetE1EEEvSP_,comdat
	.protected	_ZN7rocprim17ROCPRIM_400000_NS6detail17trampoline_kernelINS0_14default_configENS1_21merge_config_selectorIiNS0_10empty_typeEEEZNS1_10merge_implIS3_N6thrust23THRUST_200600_302600_NS6detail15normal_iteratorINS9_10device_ptrIKiEEEESF_NSB_INSC_IiEEEEPS5_SI_SI_NS9_4lessIiEEEE10hipError_tPvRmT0_T1_T2_T3_T4_T5_mmT6_P12ihipStream_tbEUlT_E_NS1_11comp_targetILNS1_3genE5ELNS1_11target_archE942ELNS1_3gpuE9ELNS1_3repE0EEENS1_30default_config_static_selectorELNS0_4arch9wavefront6targetE1EEEvSP_ ; -- Begin function _ZN7rocprim17ROCPRIM_400000_NS6detail17trampoline_kernelINS0_14default_configENS1_21merge_config_selectorIiNS0_10empty_typeEEEZNS1_10merge_implIS3_N6thrust23THRUST_200600_302600_NS6detail15normal_iteratorINS9_10device_ptrIKiEEEESF_NSB_INSC_IiEEEEPS5_SI_SI_NS9_4lessIiEEEE10hipError_tPvRmT0_T1_T2_T3_T4_T5_mmT6_P12ihipStream_tbEUlT_E_NS1_11comp_targetILNS1_3genE5ELNS1_11target_archE942ELNS1_3gpuE9ELNS1_3repE0EEENS1_30default_config_static_selectorELNS0_4arch9wavefront6targetE1EEEvSP_
	.globl	_ZN7rocprim17ROCPRIM_400000_NS6detail17trampoline_kernelINS0_14default_configENS1_21merge_config_selectorIiNS0_10empty_typeEEEZNS1_10merge_implIS3_N6thrust23THRUST_200600_302600_NS6detail15normal_iteratorINS9_10device_ptrIKiEEEESF_NSB_INSC_IiEEEEPS5_SI_SI_NS9_4lessIiEEEE10hipError_tPvRmT0_T1_T2_T3_T4_T5_mmT6_P12ihipStream_tbEUlT_E_NS1_11comp_targetILNS1_3genE5ELNS1_11target_archE942ELNS1_3gpuE9ELNS1_3repE0EEENS1_30default_config_static_selectorELNS0_4arch9wavefront6targetE1EEEvSP_
	.p2align	8
	.type	_ZN7rocprim17ROCPRIM_400000_NS6detail17trampoline_kernelINS0_14default_configENS1_21merge_config_selectorIiNS0_10empty_typeEEEZNS1_10merge_implIS3_N6thrust23THRUST_200600_302600_NS6detail15normal_iteratorINS9_10device_ptrIKiEEEESF_NSB_INSC_IiEEEEPS5_SI_SI_NS9_4lessIiEEEE10hipError_tPvRmT0_T1_T2_T3_T4_T5_mmT6_P12ihipStream_tbEUlT_E_NS1_11comp_targetILNS1_3genE5ELNS1_11target_archE942ELNS1_3gpuE9ELNS1_3repE0EEENS1_30default_config_static_selectorELNS0_4arch9wavefront6targetE1EEEvSP_,@function
_ZN7rocprim17ROCPRIM_400000_NS6detail17trampoline_kernelINS0_14default_configENS1_21merge_config_selectorIiNS0_10empty_typeEEEZNS1_10merge_implIS3_N6thrust23THRUST_200600_302600_NS6detail15normal_iteratorINS9_10device_ptrIKiEEEESF_NSB_INSC_IiEEEEPS5_SI_SI_NS9_4lessIiEEEE10hipError_tPvRmT0_T1_T2_T3_T4_T5_mmT6_P12ihipStream_tbEUlT_E_NS1_11comp_targetILNS1_3genE5ELNS1_11target_archE942ELNS1_3gpuE9ELNS1_3repE0EEENS1_30default_config_static_selectorELNS0_4arch9wavefront6targetE1EEEvSP_: ; @_ZN7rocprim17ROCPRIM_400000_NS6detail17trampoline_kernelINS0_14default_configENS1_21merge_config_selectorIiNS0_10empty_typeEEEZNS1_10merge_implIS3_N6thrust23THRUST_200600_302600_NS6detail15normal_iteratorINS9_10device_ptrIKiEEEESF_NSB_INSC_IiEEEEPS5_SI_SI_NS9_4lessIiEEEE10hipError_tPvRmT0_T1_T2_T3_T4_T5_mmT6_P12ihipStream_tbEUlT_E_NS1_11comp_targetILNS1_3genE5ELNS1_11target_archE942ELNS1_3gpuE9ELNS1_3repE0EEENS1_30default_config_static_selectorELNS0_4arch9wavefront6targetE1EEEvSP_
; %bb.0:
	.section	.rodata,"a",@progbits
	.p2align	6, 0x0
	.amdhsa_kernel _ZN7rocprim17ROCPRIM_400000_NS6detail17trampoline_kernelINS0_14default_configENS1_21merge_config_selectorIiNS0_10empty_typeEEEZNS1_10merge_implIS3_N6thrust23THRUST_200600_302600_NS6detail15normal_iteratorINS9_10device_ptrIKiEEEESF_NSB_INSC_IiEEEEPS5_SI_SI_NS9_4lessIiEEEE10hipError_tPvRmT0_T1_T2_T3_T4_T5_mmT6_P12ihipStream_tbEUlT_E_NS1_11comp_targetILNS1_3genE5ELNS1_11target_archE942ELNS1_3gpuE9ELNS1_3repE0EEENS1_30default_config_static_selectorELNS0_4arch9wavefront6targetE1EEEvSP_
		.amdhsa_group_segment_fixed_size 0
		.amdhsa_private_segment_fixed_size 0
		.amdhsa_kernarg_size 48
		.amdhsa_user_sgpr_count 2
		.amdhsa_user_sgpr_dispatch_ptr 0
		.amdhsa_user_sgpr_queue_ptr 0
		.amdhsa_user_sgpr_kernarg_segment_ptr 1
		.amdhsa_user_sgpr_dispatch_id 0
		.amdhsa_user_sgpr_kernarg_preload_length 0
		.amdhsa_user_sgpr_kernarg_preload_offset 0
		.amdhsa_user_sgpr_private_segment_size 0
		.amdhsa_uses_dynamic_stack 0
		.amdhsa_enable_private_segment 0
		.amdhsa_system_sgpr_workgroup_id_x 1
		.amdhsa_system_sgpr_workgroup_id_y 0
		.amdhsa_system_sgpr_workgroup_id_z 0
		.amdhsa_system_sgpr_workgroup_info 0
		.amdhsa_system_vgpr_workitem_id 0
		.amdhsa_next_free_vgpr 1
		.amdhsa_next_free_sgpr 0
		.amdhsa_accum_offset 4
		.amdhsa_reserve_vcc 0
		.amdhsa_float_round_mode_32 0
		.amdhsa_float_round_mode_16_64 0
		.amdhsa_float_denorm_mode_32 3
		.amdhsa_float_denorm_mode_16_64 3
		.amdhsa_dx10_clamp 1
		.amdhsa_ieee_mode 1
		.amdhsa_fp16_overflow 0
		.amdhsa_tg_split 0
		.amdhsa_exception_fp_ieee_invalid_op 0
		.amdhsa_exception_fp_denorm_src 0
		.amdhsa_exception_fp_ieee_div_zero 0
		.amdhsa_exception_fp_ieee_overflow 0
		.amdhsa_exception_fp_ieee_underflow 0
		.amdhsa_exception_fp_ieee_inexact 0
		.amdhsa_exception_int_div_zero 0
	.end_amdhsa_kernel
	.section	.text._ZN7rocprim17ROCPRIM_400000_NS6detail17trampoline_kernelINS0_14default_configENS1_21merge_config_selectorIiNS0_10empty_typeEEEZNS1_10merge_implIS3_N6thrust23THRUST_200600_302600_NS6detail15normal_iteratorINS9_10device_ptrIKiEEEESF_NSB_INSC_IiEEEEPS5_SI_SI_NS9_4lessIiEEEE10hipError_tPvRmT0_T1_T2_T3_T4_T5_mmT6_P12ihipStream_tbEUlT_E_NS1_11comp_targetILNS1_3genE5ELNS1_11target_archE942ELNS1_3gpuE9ELNS1_3repE0EEENS1_30default_config_static_selectorELNS0_4arch9wavefront6targetE1EEEvSP_,"axG",@progbits,_ZN7rocprim17ROCPRIM_400000_NS6detail17trampoline_kernelINS0_14default_configENS1_21merge_config_selectorIiNS0_10empty_typeEEEZNS1_10merge_implIS3_N6thrust23THRUST_200600_302600_NS6detail15normal_iteratorINS9_10device_ptrIKiEEEESF_NSB_INSC_IiEEEEPS5_SI_SI_NS9_4lessIiEEEE10hipError_tPvRmT0_T1_T2_T3_T4_T5_mmT6_P12ihipStream_tbEUlT_E_NS1_11comp_targetILNS1_3genE5ELNS1_11target_archE942ELNS1_3gpuE9ELNS1_3repE0EEENS1_30default_config_static_selectorELNS0_4arch9wavefront6targetE1EEEvSP_,comdat
.Lfunc_end2:
	.size	_ZN7rocprim17ROCPRIM_400000_NS6detail17trampoline_kernelINS0_14default_configENS1_21merge_config_selectorIiNS0_10empty_typeEEEZNS1_10merge_implIS3_N6thrust23THRUST_200600_302600_NS6detail15normal_iteratorINS9_10device_ptrIKiEEEESF_NSB_INSC_IiEEEEPS5_SI_SI_NS9_4lessIiEEEE10hipError_tPvRmT0_T1_T2_T3_T4_T5_mmT6_P12ihipStream_tbEUlT_E_NS1_11comp_targetILNS1_3genE5ELNS1_11target_archE942ELNS1_3gpuE9ELNS1_3repE0EEENS1_30default_config_static_selectorELNS0_4arch9wavefront6targetE1EEEvSP_, .Lfunc_end2-_ZN7rocprim17ROCPRIM_400000_NS6detail17trampoline_kernelINS0_14default_configENS1_21merge_config_selectorIiNS0_10empty_typeEEEZNS1_10merge_implIS3_N6thrust23THRUST_200600_302600_NS6detail15normal_iteratorINS9_10device_ptrIKiEEEESF_NSB_INSC_IiEEEEPS5_SI_SI_NS9_4lessIiEEEE10hipError_tPvRmT0_T1_T2_T3_T4_T5_mmT6_P12ihipStream_tbEUlT_E_NS1_11comp_targetILNS1_3genE5ELNS1_11target_archE942ELNS1_3gpuE9ELNS1_3repE0EEENS1_30default_config_static_selectorELNS0_4arch9wavefront6targetE1EEEvSP_
                                        ; -- End function
	.set _ZN7rocprim17ROCPRIM_400000_NS6detail17trampoline_kernelINS0_14default_configENS1_21merge_config_selectorIiNS0_10empty_typeEEEZNS1_10merge_implIS3_N6thrust23THRUST_200600_302600_NS6detail15normal_iteratorINS9_10device_ptrIKiEEEESF_NSB_INSC_IiEEEEPS5_SI_SI_NS9_4lessIiEEEE10hipError_tPvRmT0_T1_T2_T3_T4_T5_mmT6_P12ihipStream_tbEUlT_E_NS1_11comp_targetILNS1_3genE5ELNS1_11target_archE942ELNS1_3gpuE9ELNS1_3repE0EEENS1_30default_config_static_selectorELNS0_4arch9wavefront6targetE1EEEvSP_.num_vgpr, 0
	.set _ZN7rocprim17ROCPRIM_400000_NS6detail17trampoline_kernelINS0_14default_configENS1_21merge_config_selectorIiNS0_10empty_typeEEEZNS1_10merge_implIS3_N6thrust23THRUST_200600_302600_NS6detail15normal_iteratorINS9_10device_ptrIKiEEEESF_NSB_INSC_IiEEEEPS5_SI_SI_NS9_4lessIiEEEE10hipError_tPvRmT0_T1_T2_T3_T4_T5_mmT6_P12ihipStream_tbEUlT_E_NS1_11comp_targetILNS1_3genE5ELNS1_11target_archE942ELNS1_3gpuE9ELNS1_3repE0EEENS1_30default_config_static_selectorELNS0_4arch9wavefront6targetE1EEEvSP_.num_agpr, 0
	.set _ZN7rocprim17ROCPRIM_400000_NS6detail17trampoline_kernelINS0_14default_configENS1_21merge_config_selectorIiNS0_10empty_typeEEEZNS1_10merge_implIS3_N6thrust23THRUST_200600_302600_NS6detail15normal_iteratorINS9_10device_ptrIKiEEEESF_NSB_INSC_IiEEEEPS5_SI_SI_NS9_4lessIiEEEE10hipError_tPvRmT0_T1_T2_T3_T4_T5_mmT6_P12ihipStream_tbEUlT_E_NS1_11comp_targetILNS1_3genE5ELNS1_11target_archE942ELNS1_3gpuE9ELNS1_3repE0EEENS1_30default_config_static_selectorELNS0_4arch9wavefront6targetE1EEEvSP_.numbered_sgpr, 0
	.set _ZN7rocprim17ROCPRIM_400000_NS6detail17trampoline_kernelINS0_14default_configENS1_21merge_config_selectorIiNS0_10empty_typeEEEZNS1_10merge_implIS3_N6thrust23THRUST_200600_302600_NS6detail15normal_iteratorINS9_10device_ptrIKiEEEESF_NSB_INSC_IiEEEEPS5_SI_SI_NS9_4lessIiEEEE10hipError_tPvRmT0_T1_T2_T3_T4_T5_mmT6_P12ihipStream_tbEUlT_E_NS1_11comp_targetILNS1_3genE5ELNS1_11target_archE942ELNS1_3gpuE9ELNS1_3repE0EEENS1_30default_config_static_selectorELNS0_4arch9wavefront6targetE1EEEvSP_.num_named_barrier, 0
	.set _ZN7rocprim17ROCPRIM_400000_NS6detail17trampoline_kernelINS0_14default_configENS1_21merge_config_selectorIiNS0_10empty_typeEEEZNS1_10merge_implIS3_N6thrust23THRUST_200600_302600_NS6detail15normal_iteratorINS9_10device_ptrIKiEEEESF_NSB_INSC_IiEEEEPS5_SI_SI_NS9_4lessIiEEEE10hipError_tPvRmT0_T1_T2_T3_T4_T5_mmT6_P12ihipStream_tbEUlT_E_NS1_11comp_targetILNS1_3genE5ELNS1_11target_archE942ELNS1_3gpuE9ELNS1_3repE0EEENS1_30default_config_static_selectorELNS0_4arch9wavefront6targetE1EEEvSP_.private_seg_size, 0
	.set _ZN7rocprim17ROCPRIM_400000_NS6detail17trampoline_kernelINS0_14default_configENS1_21merge_config_selectorIiNS0_10empty_typeEEEZNS1_10merge_implIS3_N6thrust23THRUST_200600_302600_NS6detail15normal_iteratorINS9_10device_ptrIKiEEEESF_NSB_INSC_IiEEEEPS5_SI_SI_NS9_4lessIiEEEE10hipError_tPvRmT0_T1_T2_T3_T4_T5_mmT6_P12ihipStream_tbEUlT_E_NS1_11comp_targetILNS1_3genE5ELNS1_11target_archE942ELNS1_3gpuE9ELNS1_3repE0EEENS1_30default_config_static_selectorELNS0_4arch9wavefront6targetE1EEEvSP_.uses_vcc, 0
	.set _ZN7rocprim17ROCPRIM_400000_NS6detail17trampoline_kernelINS0_14default_configENS1_21merge_config_selectorIiNS0_10empty_typeEEEZNS1_10merge_implIS3_N6thrust23THRUST_200600_302600_NS6detail15normal_iteratorINS9_10device_ptrIKiEEEESF_NSB_INSC_IiEEEEPS5_SI_SI_NS9_4lessIiEEEE10hipError_tPvRmT0_T1_T2_T3_T4_T5_mmT6_P12ihipStream_tbEUlT_E_NS1_11comp_targetILNS1_3genE5ELNS1_11target_archE942ELNS1_3gpuE9ELNS1_3repE0EEENS1_30default_config_static_selectorELNS0_4arch9wavefront6targetE1EEEvSP_.uses_flat_scratch, 0
	.set _ZN7rocprim17ROCPRIM_400000_NS6detail17trampoline_kernelINS0_14default_configENS1_21merge_config_selectorIiNS0_10empty_typeEEEZNS1_10merge_implIS3_N6thrust23THRUST_200600_302600_NS6detail15normal_iteratorINS9_10device_ptrIKiEEEESF_NSB_INSC_IiEEEEPS5_SI_SI_NS9_4lessIiEEEE10hipError_tPvRmT0_T1_T2_T3_T4_T5_mmT6_P12ihipStream_tbEUlT_E_NS1_11comp_targetILNS1_3genE5ELNS1_11target_archE942ELNS1_3gpuE9ELNS1_3repE0EEENS1_30default_config_static_selectorELNS0_4arch9wavefront6targetE1EEEvSP_.has_dyn_sized_stack, 0
	.set _ZN7rocprim17ROCPRIM_400000_NS6detail17trampoline_kernelINS0_14default_configENS1_21merge_config_selectorIiNS0_10empty_typeEEEZNS1_10merge_implIS3_N6thrust23THRUST_200600_302600_NS6detail15normal_iteratorINS9_10device_ptrIKiEEEESF_NSB_INSC_IiEEEEPS5_SI_SI_NS9_4lessIiEEEE10hipError_tPvRmT0_T1_T2_T3_T4_T5_mmT6_P12ihipStream_tbEUlT_E_NS1_11comp_targetILNS1_3genE5ELNS1_11target_archE942ELNS1_3gpuE9ELNS1_3repE0EEENS1_30default_config_static_selectorELNS0_4arch9wavefront6targetE1EEEvSP_.has_recursion, 0
	.set _ZN7rocprim17ROCPRIM_400000_NS6detail17trampoline_kernelINS0_14default_configENS1_21merge_config_selectorIiNS0_10empty_typeEEEZNS1_10merge_implIS3_N6thrust23THRUST_200600_302600_NS6detail15normal_iteratorINS9_10device_ptrIKiEEEESF_NSB_INSC_IiEEEEPS5_SI_SI_NS9_4lessIiEEEE10hipError_tPvRmT0_T1_T2_T3_T4_T5_mmT6_P12ihipStream_tbEUlT_E_NS1_11comp_targetILNS1_3genE5ELNS1_11target_archE942ELNS1_3gpuE9ELNS1_3repE0EEENS1_30default_config_static_selectorELNS0_4arch9wavefront6targetE1EEEvSP_.has_indirect_call, 0
	.section	.AMDGPU.csdata,"",@progbits
; Kernel info:
; codeLenInByte = 0
; TotalNumSgprs: 6
; NumVgprs: 0
; NumAgprs: 0
; TotalNumVgprs: 0
; ScratchSize: 0
; MemoryBound: 0
; FloatMode: 240
; IeeeMode: 1
; LDSByteSize: 0 bytes/workgroup (compile time only)
; SGPRBlocks: 0
; VGPRBlocks: 0
; NumSGPRsForWavesPerEU: 6
; NumVGPRsForWavesPerEU: 1
; AccumOffset: 4
; Occupancy: 8
; WaveLimiterHint : 0
; COMPUTE_PGM_RSRC2:SCRATCH_EN: 0
; COMPUTE_PGM_RSRC2:USER_SGPR: 2
; COMPUTE_PGM_RSRC2:TRAP_HANDLER: 0
; COMPUTE_PGM_RSRC2:TGID_X_EN: 1
; COMPUTE_PGM_RSRC2:TGID_Y_EN: 0
; COMPUTE_PGM_RSRC2:TGID_Z_EN: 0
; COMPUTE_PGM_RSRC2:TIDIG_COMP_CNT: 0
; COMPUTE_PGM_RSRC3_GFX90A:ACCUM_OFFSET: 0
; COMPUTE_PGM_RSRC3_GFX90A:TG_SPLIT: 0
	.section	.text._ZN7rocprim17ROCPRIM_400000_NS6detail17trampoline_kernelINS0_14default_configENS1_21merge_config_selectorIiNS0_10empty_typeEEEZNS1_10merge_implIS3_N6thrust23THRUST_200600_302600_NS6detail15normal_iteratorINS9_10device_ptrIKiEEEESF_NSB_INSC_IiEEEEPS5_SI_SI_NS9_4lessIiEEEE10hipError_tPvRmT0_T1_T2_T3_T4_T5_mmT6_P12ihipStream_tbEUlT_E_NS1_11comp_targetILNS1_3genE4ELNS1_11target_archE910ELNS1_3gpuE8ELNS1_3repE0EEENS1_30default_config_static_selectorELNS0_4arch9wavefront6targetE1EEEvSP_,"axG",@progbits,_ZN7rocprim17ROCPRIM_400000_NS6detail17trampoline_kernelINS0_14default_configENS1_21merge_config_selectorIiNS0_10empty_typeEEEZNS1_10merge_implIS3_N6thrust23THRUST_200600_302600_NS6detail15normal_iteratorINS9_10device_ptrIKiEEEESF_NSB_INSC_IiEEEEPS5_SI_SI_NS9_4lessIiEEEE10hipError_tPvRmT0_T1_T2_T3_T4_T5_mmT6_P12ihipStream_tbEUlT_E_NS1_11comp_targetILNS1_3genE4ELNS1_11target_archE910ELNS1_3gpuE8ELNS1_3repE0EEENS1_30default_config_static_selectorELNS0_4arch9wavefront6targetE1EEEvSP_,comdat
	.protected	_ZN7rocprim17ROCPRIM_400000_NS6detail17trampoline_kernelINS0_14default_configENS1_21merge_config_selectorIiNS0_10empty_typeEEEZNS1_10merge_implIS3_N6thrust23THRUST_200600_302600_NS6detail15normal_iteratorINS9_10device_ptrIKiEEEESF_NSB_INSC_IiEEEEPS5_SI_SI_NS9_4lessIiEEEE10hipError_tPvRmT0_T1_T2_T3_T4_T5_mmT6_P12ihipStream_tbEUlT_E_NS1_11comp_targetILNS1_3genE4ELNS1_11target_archE910ELNS1_3gpuE8ELNS1_3repE0EEENS1_30default_config_static_selectorELNS0_4arch9wavefront6targetE1EEEvSP_ ; -- Begin function _ZN7rocprim17ROCPRIM_400000_NS6detail17trampoline_kernelINS0_14default_configENS1_21merge_config_selectorIiNS0_10empty_typeEEEZNS1_10merge_implIS3_N6thrust23THRUST_200600_302600_NS6detail15normal_iteratorINS9_10device_ptrIKiEEEESF_NSB_INSC_IiEEEEPS5_SI_SI_NS9_4lessIiEEEE10hipError_tPvRmT0_T1_T2_T3_T4_T5_mmT6_P12ihipStream_tbEUlT_E_NS1_11comp_targetILNS1_3genE4ELNS1_11target_archE910ELNS1_3gpuE8ELNS1_3repE0EEENS1_30default_config_static_selectorELNS0_4arch9wavefront6targetE1EEEvSP_
	.globl	_ZN7rocprim17ROCPRIM_400000_NS6detail17trampoline_kernelINS0_14default_configENS1_21merge_config_selectorIiNS0_10empty_typeEEEZNS1_10merge_implIS3_N6thrust23THRUST_200600_302600_NS6detail15normal_iteratorINS9_10device_ptrIKiEEEESF_NSB_INSC_IiEEEEPS5_SI_SI_NS9_4lessIiEEEE10hipError_tPvRmT0_T1_T2_T3_T4_T5_mmT6_P12ihipStream_tbEUlT_E_NS1_11comp_targetILNS1_3genE4ELNS1_11target_archE910ELNS1_3gpuE8ELNS1_3repE0EEENS1_30default_config_static_selectorELNS0_4arch9wavefront6targetE1EEEvSP_
	.p2align	8
	.type	_ZN7rocprim17ROCPRIM_400000_NS6detail17trampoline_kernelINS0_14default_configENS1_21merge_config_selectorIiNS0_10empty_typeEEEZNS1_10merge_implIS3_N6thrust23THRUST_200600_302600_NS6detail15normal_iteratorINS9_10device_ptrIKiEEEESF_NSB_INSC_IiEEEEPS5_SI_SI_NS9_4lessIiEEEE10hipError_tPvRmT0_T1_T2_T3_T4_T5_mmT6_P12ihipStream_tbEUlT_E_NS1_11comp_targetILNS1_3genE4ELNS1_11target_archE910ELNS1_3gpuE8ELNS1_3repE0EEENS1_30default_config_static_selectorELNS0_4arch9wavefront6targetE1EEEvSP_,@function
_ZN7rocprim17ROCPRIM_400000_NS6detail17trampoline_kernelINS0_14default_configENS1_21merge_config_selectorIiNS0_10empty_typeEEEZNS1_10merge_implIS3_N6thrust23THRUST_200600_302600_NS6detail15normal_iteratorINS9_10device_ptrIKiEEEESF_NSB_INSC_IiEEEEPS5_SI_SI_NS9_4lessIiEEEE10hipError_tPvRmT0_T1_T2_T3_T4_T5_mmT6_P12ihipStream_tbEUlT_E_NS1_11comp_targetILNS1_3genE4ELNS1_11target_archE910ELNS1_3gpuE8ELNS1_3repE0EEENS1_30default_config_static_selectorELNS0_4arch9wavefront6targetE1EEEvSP_: ; @_ZN7rocprim17ROCPRIM_400000_NS6detail17trampoline_kernelINS0_14default_configENS1_21merge_config_selectorIiNS0_10empty_typeEEEZNS1_10merge_implIS3_N6thrust23THRUST_200600_302600_NS6detail15normal_iteratorINS9_10device_ptrIKiEEEESF_NSB_INSC_IiEEEEPS5_SI_SI_NS9_4lessIiEEEE10hipError_tPvRmT0_T1_T2_T3_T4_T5_mmT6_P12ihipStream_tbEUlT_E_NS1_11comp_targetILNS1_3genE4ELNS1_11target_archE910ELNS1_3gpuE8ELNS1_3repE0EEENS1_30default_config_static_selectorELNS0_4arch9wavefront6targetE1EEEvSP_
; %bb.0:
	.section	.rodata,"a",@progbits
	.p2align	6, 0x0
	.amdhsa_kernel _ZN7rocprim17ROCPRIM_400000_NS6detail17trampoline_kernelINS0_14default_configENS1_21merge_config_selectorIiNS0_10empty_typeEEEZNS1_10merge_implIS3_N6thrust23THRUST_200600_302600_NS6detail15normal_iteratorINS9_10device_ptrIKiEEEESF_NSB_INSC_IiEEEEPS5_SI_SI_NS9_4lessIiEEEE10hipError_tPvRmT0_T1_T2_T3_T4_T5_mmT6_P12ihipStream_tbEUlT_E_NS1_11comp_targetILNS1_3genE4ELNS1_11target_archE910ELNS1_3gpuE8ELNS1_3repE0EEENS1_30default_config_static_selectorELNS0_4arch9wavefront6targetE1EEEvSP_
		.amdhsa_group_segment_fixed_size 0
		.amdhsa_private_segment_fixed_size 0
		.amdhsa_kernarg_size 48
		.amdhsa_user_sgpr_count 2
		.amdhsa_user_sgpr_dispatch_ptr 0
		.amdhsa_user_sgpr_queue_ptr 0
		.amdhsa_user_sgpr_kernarg_segment_ptr 1
		.amdhsa_user_sgpr_dispatch_id 0
		.amdhsa_user_sgpr_kernarg_preload_length 0
		.amdhsa_user_sgpr_kernarg_preload_offset 0
		.amdhsa_user_sgpr_private_segment_size 0
		.amdhsa_uses_dynamic_stack 0
		.amdhsa_enable_private_segment 0
		.amdhsa_system_sgpr_workgroup_id_x 1
		.amdhsa_system_sgpr_workgroup_id_y 0
		.amdhsa_system_sgpr_workgroup_id_z 0
		.amdhsa_system_sgpr_workgroup_info 0
		.amdhsa_system_vgpr_workitem_id 0
		.amdhsa_next_free_vgpr 1
		.amdhsa_next_free_sgpr 0
		.amdhsa_accum_offset 4
		.amdhsa_reserve_vcc 0
		.amdhsa_float_round_mode_32 0
		.amdhsa_float_round_mode_16_64 0
		.amdhsa_float_denorm_mode_32 3
		.amdhsa_float_denorm_mode_16_64 3
		.amdhsa_dx10_clamp 1
		.amdhsa_ieee_mode 1
		.amdhsa_fp16_overflow 0
		.amdhsa_tg_split 0
		.amdhsa_exception_fp_ieee_invalid_op 0
		.amdhsa_exception_fp_denorm_src 0
		.amdhsa_exception_fp_ieee_div_zero 0
		.amdhsa_exception_fp_ieee_overflow 0
		.amdhsa_exception_fp_ieee_underflow 0
		.amdhsa_exception_fp_ieee_inexact 0
		.amdhsa_exception_int_div_zero 0
	.end_amdhsa_kernel
	.section	.text._ZN7rocprim17ROCPRIM_400000_NS6detail17trampoline_kernelINS0_14default_configENS1_21merge_config_selectorIiNS0_10empty_typeEEEZNS1_10merge_implIS3_N6thrust23THRUST_200600_302600_NS6detail15normal_iteratorINS9_10device_ptrIKiEEEESF_NSB_INSC_IiEEEEPS5_SI_SI_NS9_4lessIiEEEE10hipError_tPvRmT0_T1_T2_T3_T4_T5_mmT6_P12ihipStream_tbEUlT_E_NS1_11comp_targetILNS1_3genE4ELNS1_11target_archE910ELNS1_3gpuE8ELNS1_3repE0EEENS1_30default_config_static_selectorELNS0_4arch9wavefront6targetE1EEEvSP_,"axG",@progbits,_ZN7rocprim17ROCPRIM_400000_NS6detail17trampoline_kernelINS0_14default_configENS1_21merge_config_selectorIiNS0_10empty_typeEEEZNS1_10merge_implIS3_N6thrust23THRUST_200600_302600_NS6detail15normal_iteratorINS9_10device_ptrIKiEEEESF_NSB_INSC_IiEEEEPS5_SI_SI_NS9_4lessIiEEEE10hipError_tPvRmT0_T1_T2_T3_T4_T5_mmT6_P12ihipStream_tbEUlT_E_NS1_11comp_targetILNS1_3genE4ELNS1_11target_archE910ELNS1_3gpuE8ELNS1_3repE0EEENS1_30default_config_static_selectorELNS0_4arch9wavefront6targetE1EEEvSP_,comdat
.Lfunc_end3:
	.size	_ZN7rocprim17ROCPRIM_400000_NS6detail17trampoline_kernelINS0_14default_configENS1_21merge_config_selectorIiNS0_10empty_typeEEEZNS1_10merge_implIS3_N6thrust23THRUST_200600_302600_NS6detail15normal_iteratorINS9_10device_ptrIKiEEEESF_NSB_INSC_IiEEEEPS5_SI_SI_NS9_4lessIiEEEE10hipError_tPvRmT0_T1_T2_T3_T4_T5_mmT6_P12ihipStream_tbEUlT_E_NS1_11comp_targetILNS1_3genE4ELNS1_11target_archE910ELNS1_3gpuE8ELNS1_3repE0EEENS1_30default_config_static_selectorELNS0_4arch9wavefront6targetE1EEEvSP_, .Lfunc_end3-_ZN7rocprim17ROCPRIM_400000_NS6detail17trampoline_kernelINS0_14default_configENS1_21merge_config_selectorIiNS0_10empty_typeEEEZNS1_10merge_implIS3_N6thrust23THRUST_200600_302600_NS6detail15normal_iteratorINS9_10device_ptrIKiEEEESF_NSB_INSC_IiEEEEPS5_SI_SI_NS9_4lessIiEEEE10hipError_tPvRmT0_T1_T2_T3_T4_T5_mmT6_P12ihipStream_tbEUlT_E_NS1_11comp_targetILNS1_3genE4ELNS1_11target_archE910ELNS1_3gpuE8ELNS1_3repE0EEENS1_30default_config_static_selectorELNS0_4arch9wavefront6targetE1EEEvSP_
                                        ; -- End function
	.set _ZN7rocprim17ROCPRIM_400000_NS6detail17trampoline_kernelINS0_14default_configENS1_21merge_config_selectorIiNS0_10empty_typeEEEZNS1_10merge_implIS3_N6thrust23THRUST_200600_302600_NS6detail15normal_iteratorINS9_10device_ptrIKiEEEESF_NSB_INSC_IiEEEEPS5_SI_SI_NS9_4lessIiEEEE10hipError_tPvRmT0_T1_T2_T3_T4_T5_mmT6_P12ihipStream_tbEUlT_E_NS1_11comp_targetILNS1_3genE4ELNS1_11target_archE910ELNS1_3gpuE8ELNS1_3repE0EEENS1_30default_config_static_selectorELNS0_4arch9wavefront6targetE1EEEvSP_.num_vgpr, 0
	.set _ZN7rocprim17ROCPRIM_400000_NS6detail17trampoline_kernelINS0_14default_configENS1_21merge_config_selectorIiNS0_10empty_typeEEEZNS1_10merge_implIS3_N6thrust23THRUST_200600_302600_NS6detail15normal_iteratorINS9_10device_ptrIKiEEEESF_NSB_INSC_IiEEEEPS5_SI_SI_NS9_4lessIiEEEE10hipError_tPvRmT0_T1_T2_T3_T4_T5_mmT6_P12ihipStream_tbEUlT_E_NS1_11comp_targetILNS1_3genE4ELNS1_11target_archE910ELNS1_3gpuE8ELNS1_3repE0EEENS1_30default_config_static_selectorELNS0_4arch9wavefront6targetE1EEEvSP_.num_agpr, 0
	.set _ZN7rocprim17ROCPRIM_400000_NS6detail17trampoline_kernelINS0_14default_configENS1_21merge_config_selectorIiNS0_10empty_typeEEEZNS1_10merge_implIS3_N6thrust23THRUST_200600_302600_NS6detail15normal_iteratorINS9_10device_ptrIKiEEEESF_NSB_INSC_IiEEEEPS5_SI_SI_NS9_4lessIiEEEE10hipError_tPvRmT0_T1_T2_T3_T4_T5_mmT6_P12ihipStream_tbEUlT_E_NS1_11comp_targetILNS1_3genE4ELNS1_11target_archE910ELNS1_3gpuE8ELNS1_3repE0EEENS1_30default_config_static_selectorELNS0_4arch9wavefront6targetE1EEEvSP_.numbered_sgpr, 0
	.set _ZN7rocprim17ROCPRIM_400000_NS6detail17trampoline_kernelINS0_14default_configENS1_21merge_config_selectorIiNS0_10empty_typeEEEZNS1_10merge_implIS3_N6thrust23THRUST_200600_302600_NS6detail15normal_iteratorINS9_10device_ptrIKiEEEESF_NSB_INSC_IiEEEEPS5_SI_SI_NS9_4lessIiEEEE10hipError_tPvRmT0_T1_T2_T3_T4_T5_mmT6_P12ihipStream_tbEUlT_E_NS1_11comp_targetILNS1_3genE4ELNS1_11target_archE910ELNS1_3gpuE8ELNS1_3repE0EEENS1_30default_config_static_selectorELNS0_4arch9wavefront6targetE1EEEvSP_.num_named_barrier, 0
	.set _ZN7rocprim17ROCPRIM_400000_NS6detail17trampoline_kernelINS0_14default_configENS1_21merge_config_selectorIiNS0_10empty_typeEEEZNS1_10merge_implIS3_N6thrust23THRUST_200600_302600_NS6detail15normal_iteratorINS9_10device_ptrIKiEEEESF_NSB_INSC_IiEEEEPS5_SI_SI_NS9_4lessIiEEEE10hipError_tPvRmT0_T1_T2_T3_T4_T5_mmT6_P12ihipStream_tbEUlT_E_NS1_11comp_targetILNS1_3genE4ELNS1_11target_archE910ELNS1_3gpuE8ELNS1_3repE0EEENS1_30default_config_static_selectorELNS0_4arch9wavefront6targetE1EEEvSP_.private_seg_size, 0
	.set _ZN7rocprim17ROCPRIM_400000_NS6detail17trampoline_kernelINS0_14default_configENS1_21merge_config_selectorIiNS0_10empty_typeEEEZNS1_10merge_implIS3_N6thrust23THRUST_200600_302600_NS6detail15normal_iteratorINS9_10device_ptrIKiEEEESF_NSB_INSC_IiEEEEPS5_SI_SI_NS9_4lessIiEEEE10hipError_tPvRmT0_T1_T2_T3_T4_T5_mmT6_P12ihipStream_tbEUlT_E_NS1_11comp_targetILNS1_3genE4ELNS1_11target_archE910ELNS1_3gpuE8ELNS1_3repE0EEENS1_30default_config_static_selectorELNS0_4arch9wavefront6targetE1EEEvSP_.uses_vcc, 0
	.set _ZN7rocprim17ROCPRIM_400000_NS6detail17trampoline_kernelINS0_14default_configENS1_21merge_config_selectorIiNS0_10empty_typeEEEZNS1_10merge_implIS3_N6thrust23THRUST_200600_302600_NS6detail15normal_iteratorINS9_10device_ptrIKiEEEESF_NSB_INSC_IiEEEEPS5_SI_SI_NS9_4lessIiEEEE10hipError_tPvRmT0_T1_T2_T3_T4_T5_mmT6_P12ihipStream_tbEUlT_E_NS1_11comp_targetILNS1_3genE4ELNS1_11target_archE910ELNS1_3gpuE8ELNS1_3repE0EEENS1_30default_config_static_selectorELNS0_4arch9wavefront6targetE1EEEvSP_.uses_flat_scratch, 0
	.set _ZN7rocprim17ROCPRIM_400000_NS6detail17trampoline_kernelINS0_14default_configENS1_21merge_config_selectorIiNS0_10empty_typeEEEZNS1_10merge_implIS3_N6thrust23THRUST_200600_302600_NS6detail15normal_iteratorINS9_10device_ptrIKiEEEESF_NSB_INSC_IiEEEEPS5_SI_SI_NS9_4lessIiEEEE10hipError_tPvRmT0_T1_T2_T3_T4_T5_mmT6_P12ihipStream_tbEUlT_E_NS1_11comp_targetILNS1_3genE4ELNS1_11target_archE910ELNS1_3gpuE8ELNS1_3repE0EEENS1_30default_config_static_selectorELNS0_4arch9wavefront6targetE1EEEvSP_.has_dyn_sized_stack, 0
	.set _ZN7rocprim17ROCPRIM_400000_NS6detail17trampoline_kernelINS0_14default_configENS1_21merge_config_selectorIiNS0_10empty_typeEEEZNS1_10merge_implIS3_N6thrust23THRUST_200600_302600_NS6detail15normal_iteratorINS9_10device_ptrIKiEEEESF_NSB_INSC_IiEEEEPS5_SI_SI_NS9_4lessIiEEEE10hipError_tPvRmT0_T1_T2_T3_T4_T5_mmT6_P12ihipStream_tbEUlT_E_NS1_11comp_targetILNS1_3genE4ELNS1_11target_archE910ELNS1_3gpuE8ELNS1_3repE0EEENS1_30default_config_static_selectorELNS0_4arch9wavefront6targetE1EEEvSP_.has_recursion, 0
	.set _ZN7rocprim17ROCPRIM_400000_NS6detail17trampoline_kernelINS0_14default_configENS1_21merge_config_selectorIiNS0_10empty_typeEEEZNS1_10merge_implIS3_N6thrust23THRUST_200600_302600_NS6detail15normal_iteratorINS9_10device_ptrIKiEEEESF_NSB_INSC_IiEEEEPS5_SI_SI_NS9_4lessIiEEEE10hipError_tPvRmT0_T1_T2_T3_T4_T5_mmT6_P12ihipStream_tbEUlT_E_NS1_11comp_targetILNS1_3genE4ELNS1_11target_archE910ELNS1_3gpuE8ELNS1_3repE0EEENS1_30default_config_static_selectorELNS0_4arch9wavefront6targetE1EEEvSP_.has_indirect_call, 0
	.section	.AMDGPU.csdata,"",@progbits
; Kernel info:
; codeLenInByte = 0
; TotalNumSgprs: 6
; NumVgprs: 0
; NumAgprs: 0
; TotalNumVgprs: 0
; ScratchSize: 0
; MemoryBound: 0
; FloatMode: 240
; IeeeMode: 1
; LDSByteSize: 0 bytes/workgroup (compile time only)
; SGPRBlocks: 0
; VGPRBlocks: 0
; NumSGPRsForWavesPerEU: 6
; NumVGPRsForWavesPerEU: 1
; AccumOffset: 4
; Occupancy: 8
; WaveLimiterHint : 0
; COMPUTE_PGM_RSRC2:SCRATCH_EN: 0
; COMPUTE_PGM_RSRC2:USER_SGPR: 2
; COMPUTE_PGM_RSRC2:TRAP_HANDLER: 0
; COMPUTE_PGM_RSRC2:TGID_X_EN: 1
; COMPUTE_PGM_RSRC2:TGID_Y_EN: 0
; COMPUTE_PGM_RSRC2:TGID_Z_EN: 0
; COMPUTE_PGM_RSRC2:TIDIG_COMP_CNT: 0
; COMPUTE_PGM_RSRC3_GFX90A:ACCUM_OFFSET: 0
; COMPUTE_PGM_RSRC3_GFX90A:TG_SPLIT: 0
	.section	.text._ZN7rocprim17ROCPRIM_400000_NS6detail17trampoline_kernelINS0_14default_configENS1_21merge_config_selectorIiNS0_10empty_typeEEEZNS1_10merge_implIS3_N6thrust23THRUST_200600_302600_NS6detail15normal_iteratorINS9_10device_ptrIKiEEEESF_NSB_INSC_IiEEEEPS5_SI_SI_NS9_4lessIiEEEE10hipError_tPvRmT0_T1_T2_T3_T4_T5_mmT6_P12ihipStream_tbEUlT_E_NS1_11comp_targetILNS1_3genE3ELNS1_11target_archE908ELNS1_3gpuE7ELNS1_3repE0EEENS1_30default_config_static_selectorELNS0_4arch9wavefront6targetE1EEEvSP_,"axG",@progbits,_ZN7rocprim17ROCPRIM_400000_NS6detail17trampoline_kernelINS0_14default_configENS1_21merge_config_selectorIiNS0_10empty_typeEEEZNS1_10merge_implIS3_N6thrust23THRUST_200600_302600_NS6detail15normal_iteratorINS9_10device_ptrIKiEEEESF_NSB_INSC_IiEEEEPS5_SI_SI_NS9_4lessIiEEEE10hipError_tPvRmT0_T1_T2_T3_T4_T5_mmT6_P12ihipStream_tbEUlT_E_NS1_11comp_targetILNS1_3genE3ELNS1_11target_archE908ELNS1_3gpuE7ELNS1_3repE0EEENS1_30default_config_static_selectorELNS0_4arch9wavefront6targetE1EEEvSP_,comdat
	.protected	_ZN7rocprim17ROCPRIM_400000_NS6detail17trampoline_kernelINS0_14default_configENS1_21merge_config_selectorIiNS0_10empty_typeEEEZNS1_10merge_implIS3_N6thrust23THRUST_200600_302600_NS6detail15normal_iteratorINS9_10device_ptrIKiEEEESF_NSB_INSC_IiEEEEPS5_SI_SI_NS9_4lessIiEEEE10hipError_tPvRmT0_T1_T2_T3_T4_T5_mmT6_P12ihipStream_tbEUlT_E_NS1_11comp_targetILNS1_3genE3ELNS1_11target_archE908ELNS1_3gpuE7ELNS1_3repE0EEENS1_30default_config_static_selectorELNS0_4arch9wavefront6targetE1EEEvSP_ ; -- Begin function _ZN7rocprim17ROCPRIM_400000_NS6detail17trampoline_kernelINS0_14default_configENS1_21merge_config_selectorIiNS0_10empty_typeEEEZNS1_10merge_implIS3_N6thrust23THRUST_200600_302600_NS6detail15normal_iteratorINS9_10device_ptrIKiEEEESF_NSB_INSC_IiEEEEPS5_SI_SI_NS9_4lessIiEEEE10hipError_tPvRmT0_T1_T2_T3_T4_T5_mmT6_P12ihipStream_tbEUlT_E_NS1_11comp_targetILNS1_3genE3ELNS1_11target_archE908ELNS1_3gpuE7ELNS1_3repE0EEENS1_30default_config_static_selectorELNS0_4arch9wavefront6targetE1EEEvSP_
	.globl	_ZN7rocprim17ROCPRIM_400000_NS6detail17trampoline_kernelINS0_14default_configENS1_21merge_config_selectorIiNS0_10empty_typeEEEZNS1_10merge_implIS3_N6thrust23THRUST_200600_302600_NS6detail15normal_iteratorINS9_10device_ptrIKiEEEESF_NSB_INSC_IiEEEEPS5_SI_SI_NS9_4lessIiEEEE10hipError_tPvRmT0_T1_T2_T3_T4_T5_mmT6_P12ihipStream_tbEUlT_E_NS1_11comp_targetILNS1_3genE3ELNS1_11target_archE908ELNS1_3gpuE7ELNS1_3repE0EEENS1_30default_config_static_selectorELNS0_4arch9wavefront6targetE1EEEvSP_
	.p2align	8
	.type	_ZN7rocprim17ROCPRIM_400000_NS6detail17trampoline_kernelINS0_14default_configENS1_21merge_config_selectorIiNS0_10empty_typeEEEZNS1_10merge_implIS3_N6thrust23THRUST_200600_302600_NS6detail15normal_iteratorINS9_10device_ptrIKiEEEESF_NSB_INSC_IiEEEEPS5_SI_SI_NS9_4lessIiEEEE10hipError_tPvRmT0_T1_T2_T3_T4_T5_mmT6_P12ihipStream_tbEUlT_E_NS1_11comp_targetILNS1_3genE3ELNS1_11target_archE908ELNS1_3gpuE7ELNS1_3repE0EEENS1_30default_config_static_selectorELNS0_4arch9wavefront6targetE1EEEvSP_,@function
_ZN7rocprim17ROCPRIM_400000_NS6detail17trampoline_kernelINS0_14default_configENS1_21merge_config_selectorIiNS0_10empty_typeEEEZNS1_10merge_implIS3_N6thrust23THRUST_200600_302600_NS6detail15normal_iteratorINS9_10device_ptrIKiEEEESF_NSB_INSC_IiEEEEPS5_SI_SI_NS9_4lessIiEEEE10hipError_tPvRmT0_T1_T2_T3_T4_T5_mmT6_P12ihipStream_tbEUlT_E_NS1_11comp_targetILNS1_3genE3ELNS1_11target_archE908ELNS1_3gpuE7ELNS1_3repE0EEENS1_30default_config_static_selectorELNS0_4arch9wavefront6targetE1EEEvSP_: ; @_ZN7rocprim17ROCPRIM_400000_NS6detail17trampoline_kernelINS0_14default_configENS1_21merge_config_selectorIiNS0_10empty_typeEEEZNS1_10merge_implIS3_N6thrust23THRUST_200600_302600_NS6detail15normal_iteratorINS9_10device_ptrIKiEEEESF_NSB_INSC_IiEEEEPS5_SI_SI_NS9_4lessIiEEEE10hipError_tPvRmT0_T1_T2_T3_T4_T5_mmT6_P12ihipStream_tbEUlT_E_NS1_11comp_targetILNS1_3genE3ELNS1_11target_archE908ELNS1_3gpuE7ELNS1_3repE0EEENS1_30default_config_static_selectorELNS0_4arch9wavefront6targetE1EEEvSP_
; %bb.0:
	.section	.rodata,"a",@progbits
	.p2align	6, 0x0
	.amdhsa_kernel _ZN7rocprim17ROCPRIM_400000_NS6detail17trampoline_kernelINS0_14default_configENS1_21merge_config_selectorIiNS0_10empty_typeEEEZNS1_10merge_implIS3_N6thrust23THRUST_200600_302600_NS6detail15normal_iteratorINS9_10device_ptrIKiEEEESF_NSB_INSC_IiEEEEPS5_SI_SI_NS9_4lessIiEEEE10hipError_tPvRmT0_T1_T2_T3_T4_T5_mmT6_P12ihipStream_tbEUlT_E_NS1_11comp_targetILNS1_3genE3ELNS1_11target_archE908ELNS1_3gpuE7ELNS1_3repE0EEENS1_30default_config_static_selectorELNS0_4arch9wavefront6targetE1EEEvSP_
		.amdhsa_group_segment_fixed_size 0
		.amdhsa_private_segment_fixed_size 0
		.amdhsa_kernarg_size 48
		.amdhsa_user_sgpr_count 2
		.amdhsa_user_sgpr_dispatch_ptr 0
		.amdhsa_user_sgpr_queue_ptr 0
		.amdhsa_user_sgpr_kernarg_segment_ptr 1
		.amdhsa_user_sgpr_dispatch_id 0
		.amdhsa_user_sgpr_kernarg_preload_length 0
		.amdhsa_user_sgpr_kernarg_preload_offset 0
		.amdhsa_user_sgpr_private_segment_size 0
		.amdhsa_uses_dynamic_stack 0
		.amdhsa_enable_private_segment 0
		.amdhsa_system_sgpr_workgroup_id_x 1
		.amdhsa_system_sgpr_workgroup_id_y 0
		.amdhsa_system_sgpr_workgroup_id_z 0
		.amdhsa_system_sgpr_workgroup_info 0
		.amdhsa_system_vgpr_workitem_id 0
		.amdhsa_next_free_vgpr 1
		.amdhsa_next_free_sgpr 0
		.amdhsa_accum_offset 4
		.amdhsa_reserve_vcc 0
		.amdhsa_float_round_mode_32 0
		.amdhsa_float_round_mode_16_64 0
		.amdhsa_float_denorm_mode_32 3
		.amdhsa_float_denorm_mode_16_64 3
		.amdhsa_dx10_clamp 1
		.amdhsa_ieee_mode 1
		.amdhsa_fp16_overflow 0
		.amdhsa_tg_split 0
		.amdhsa_exception_fp_ieee_invalid_op 0
		.amdhsa_exception_fp_denorm_src 0
		.amdhsa_exception_fp_ieee_div_zero 0
		.amdhsa_exception_fp_ieee_overflow 0
		.amdhsa_exception_fp_ieee_underflow 0
		.amdhsa_exception_fp_ieee_inexact 0
		.amdhsa_exception_int_div_zero 0
	.end_amdhsa_kernel
	.section	.text._ZN7rocprim17ROCPRIM_400000_NS6detail17trampoline_kernelINS0_14default_configENS1_21merge_config_selectorIiNS0_10empty_typeEEEZNS1_10merge_implIS3_N6thrust23THRUST_200600_302600_NS6detail15normal_iteratorINS9_10device_ptrIKiEEEESF_NSB_INSC_IiEEEEPS5_SI_SI_NS9_4lessIiEEEE10hipError_tPvRmT0_T1_T2_T3_T4_T5_mmT6_P12ihipStream_tbEUlT_E_NS1_11comp_targetILNS1_3genE3ELNS1_11target_archE908ELNS1_3gpuE7ELNS1_3repE0EEENS1_30default_config_static_selectorELNS0_4arch9wavefront6targetE1EEEvSP_,"axG",@progbits,_ZN7rocprim17ROCPRIM_400000_NS6detail17trampoline_kernelINS0_14default_configENS1_21merge_config_selectorIiNS0_10empty_typeEEEZNS1_10merge_implIS3_N6thrust23THRUST_200600_302600_NS6detail15normal_iteratorINS9_10device_ptrIKiEEEESF_NSB_INSC_IiEEEEPS5_SI_SI_NS9_4lessIiEEEE10hipError_tPvRmT0_T1_T2_T3_T4_T5_mmT6_P12ihipStream_tbEUlT_E_NS1_11comp_targetILNS1_3genE3ELNS1_11target_archE908ELNS1_3gpuE7ELNS1_3repE0EEENS1_30default_config_static_selectorELNS0_4arch9wavefront6targetE1EEEvSP_,comdat
.Lfunc_end4:
	.size	_ZN7rocprim17ROCPRIM_400000_NS6detail17trampoline_kernelINS0_14default_configENS1_21merge_config_selectorIiNS0_10empty_typeEEEZNS1_10merge_implIS3_N6thrust23THRUST_200600_302600_NS6detail15normal_iteratorINS9_10device_ptrIKiEEEESF_NSB_INSC_IiEEEEPS5_SI_SI_NS9_4lessIiEEEE10hipError_tPvRmT0_T1_T2_T3_T4_T5_mmT6_P12ihipStream_tbEUlT_E_NS1_11comp_targetILNS1_3genE3ELNS1_11target_archE908ELNS1_3gpuE7ELNS1_3repE0EEENS1_30default_config_static_selectorELNS0_4arch9wavefront6targetE1EEEvSP_, .Lfunc_end4-_ZN7rocprim17ROCPRIM_400000_NS6detail17trampoline_kernelINS0_14default_configENS1_21merge_config_selectorIiNS0_10empty_typeEEEZNS1_10merge_implIS3_N6thrust23THRUST_200600_302600_NS6detail15normal_iteratorINS9_10device_ptrIKiEEEESF_NSB_INSC_IiEEEEPS5_SI_SI_NS9_4lessIiEEEE10hipError_tPvRmT0_T1_T2_T3_T4_T5_mmT6_P12ihipStream_tbEUlT_E_NS1_11comp_targetILNS1_3genE3ELNS1_11target_archE908ELNS1_3gpuE7ELNS1_3repE0EEENS1_30default_config_static_selectorELNS0_4arch9wavefront6targetE1EEEvSP_
                                        ; -- End function
	.set _ZN7rocprim17ROCPRIM_400000_NS6detail17trampoline_kernelINS0_14default_configENS1_21merge_config_selectorIiNS0_10empty_typeEEEZNS1_10merge_implIS3_N6thrust23THRUST_200600_302600_NS6detail15normal_iteratorINS9_10device_ptrIKiEEEESF_NSB_INSC_IiEEEEPS5_SI_SI_NS9_4lessIiEEEE10hipError_tPvRmT0_T1_T2_T3_T4_T5_mmT6_P12ihipStream_tbEUlT_E_NS1_11comp_targetILNS1_3genE3ELNS1_11target_archE908ELNS1_3gpuE7ELNS1_3repE0EEENS1_30default_config_static_selectorELNS0_4arch9wavefront6targetE1EEEvSP_.num_vgpr, 0
	.set _ZN7rocprim17ROCPRIM_400000_NS6detail17trampoline_kernelINS0_14default_configENS1_21merge_config_selectorIiNS0_10empty_typeEEEZNS1_10merge_implIS3_N6thrust23THRUST_200600_302600_NS6detail15normal_iteratorINS9_10device_ptrIKiEEEESF_NSB_INSC_IiEEEEPS5_SI_SI_NS9_4lessIiEEEE10hipError_tPvRmT0_T1_T2_T3_T4_T5_mmT6_P12ihipStream_tbEUlT_E_NS1_11comp_targetILNS1_3genE3ELNS1_11target_archE908ELNS1_3gpuE7ELNS1_3repE0EEENS1_30default_config_static_selectorELNS0_4arch9wavefront6targetE1EEEvSP_.num_agpr, 0
	.set _ZN7rocprim17ROCPRIM_400000_NS6detail17trampoline_kernelINS0_14default_configENS1_21merge_config_selectorIiNS0_10empty_typeEEEZNS1_10merge_implIS3_N6thrust23THRUST_200600_302600_NS6detail15normal_iteratorINS9_10device_ptrIKiEEEESF_NSB_INSC_IiEEEEPS5_SI_SI_NS9_4lessIiEEEE10hipError_tPvRmT0_T1_T2_T3_T4_T5_mmT6_P12ihipStream_tbEUlT_E_NS1_11comp_targetILNS1_3genE3ELNS1_11target_archE908ELNS1_3gpuE7ELNS1_3repE0EEENS1_30default_config_static_selectorELNS0_4arch9wavefront6targetE1EEEvSP_.numbered_sgpr, 0
	.set _ZN7rocprim17ROCPRIM_400000_NS6detail17trampoline_kernelINS0_14default_configENS1_21merge_config_selectorIiNS0_10empty_typeEEEZNS1_10merge_implIS3_N6thrust23THRUST_200600_302600_NS6detail15normal_iteratorINS9_10device_ptrIKiEEEESF_NSB_INSC_IiEEEEPS5_SI_SI_NS9_4lessIiEEEE10hipError_tPvRmT0_T1_T2_T3_T4_T5_mmT6_P12ihipStream_tbEUlT_E_NS1_11comp_targetILNS1_3genE3ELNS1_11target_archE908ELNS1_3gpuE7ELNS1_3repE0EEENS1_30default_config_static_selectorELNS0_4arch9wavefront6targetE1EEEvSP_.num_named_barrier, 0
	.set _ZN7rocprim17ROCPRIM_400000_NS6detail17trampoline_kernelINS0_14default_configENS1_21merge_config_selectorIiNS0_10empty_typeEEEZNS1_10merge_implIS3_N6thrust23THRUST_200600_302600_NS6detail15normal_iteratorINS9_10device_ptrIKiEEEESF_NSB_INSC_IiEEEEPS5_SI_SI_NS9_4lessIiEEEE10hipError_tPvRmT0_T1_T2_T3_T4_T5_mmT6_P12ihipStream_tbEUlT_E_NS1_11comp_targetILNS1_3genE3ELNS1_11target_archE908ELNS1_3gpuE7ELNS1_3repE0EEENS1_30default_config_static_selectorELNS0_4arch9wavefront6targetE1EEEvSP_.private_seg_size, 0
	.set _ZN7rocprim17ROCPRIM_400000_NS6detail17trampoline_kernelINS0_14default_configENS1_21merge_config_selectorIiNS0_10empty_typeEEEZNS1_10merge_implIS3_N6thrust23THRUST_200600_302600_NS6detail15normal_iteratorINS9_10device_ptrIKiEEEESF_NSB_INSC_IiEEEEPS5_SI_SI_NS9_4lessIiEEEE10hipError_tPvRmT0_T1_T2_T3_T4_T5_mmT6_P12ihipStream_tbEUlT_E_NS1_11comp_targetILNS1_3genE3ELNS1_11target_archE908ELNS1_3gpuE7ELNS1_3repE0EEENS1_30default_config_static_selectorELNS0_4arch9wavefront6targetE1EEEvSP_.uses_vcc, 0
	.set _ZN7rocprim17ROCPRIM_400000_NS6detail17trampoline_kernelINS0_14default_configENS1_21merge_config_selectorIiNS0_10empty_typeEEEZNS1_10merge_implIS3_N6thrust23THRUST_200600_302600_NS6detail15normal_iteratorINS9_10device_ptrIKiEEEESF_NSB_INSC_IiEEEEPS5_SI_SI_NS9_4lessIiEEEE10hipError_tPvRmT0_T1_T2_T3_T4_T5_mmT6_P12ihipStream_tbEUlT_E_NS1_11comp_targetILNS1_3genE3ELNS1_11target_archE908ELNS1_3gpuE7ELNS1_3repE0EEENS1_30default_config_static_selectorELNS0_4arch9wavefront6targetE1EEEvSP_.uses_flat_scratch, 0
	.set _ZN7rocprim17ROCPRIM_400000_NS6detail17trampoline_kernelINS0_14default_configENS1_21merge_config_selectorIiNS0_10empty_typeEEEZNS1_10merge_implIS3_N6thrust23THRUST_200600_302600_NS6detail15normal_iteratorINS9_10device_ptrIKiEEEESF_NSB_INSC_IiEEEEPS5_SI_SI_NS9_4lessIiEEEE10hipError_tPvRmT0_T1_T2_T3_T4_T5_mmT6_P12ihipStream_tbEUlT_E_NS1_11comp_targetILNS1_3genE3ELNS1_11target_archE908ELNS1_3gpuE7ELNS1_3repE0EEENS1_30default_config_static_selectorELNS0_4arch9wavefront6targetE1EEEvSP_.has_dyn_sized_stack, 0
	.set _ZN7rocprim17ROCPRIM_400000_NS6detail17trampoline_kernelINS0_14default_configENS1_21merge_config_selectorIiNS0_10empty_typeEEEZNS1_10merge_implIS3_N6thrust23THRUST_200600_302600_NS6detail15normal_iteratorINS9_10device_ptrIKiEEEESF_NSB_INSC_IiEEEEPS5_SI_SI_NS9_4lessIiEEEE10hipError_tPvRmT0_T1_T2_T3_T4_T5_mmT6_P12ihipStream_tbEUlT_E_NS1_11comp_targetILNS1_3genE3ELNS1_11target_archE908ELNS1_3gpuE7ELNS1_3repE0EEENS1_30default_config_static_selectorELNS0_4arch9wavefront6targetE1EEEvSP_.has_recursion, 0
	.set _ZN7rocprim17ROCPRIM_400000_NS6detail17trampoline_kernelINS0_14default_configENS1_21merge_config_selectorIiNS0_10empty_typeEEEZNS1_10merge_implIS3_N6thrust23THRUST_200600_302600_NS6detail15normal_iteratorINS9_10device_ptrIKiEEEESF_NSB_INSC_IiEEEEPS5_SI_SI_NS9_4lessIiEEEE10hipError_tPvRmT0_T1_T2_T3_T4_T5_mmT6_P12ihipStream_tbEUlT_E_NS1_11comp_targetILNS1_3genE3ELNS1_11target_archE908ELNS1_3gpuE7ELNS1_3repE0EEENS1_30default_config_static_selectorELNS0_4arch9wavefront6targetE1EEEvSP_.has_indirect_call, 0
	.section	.AMDGPU.csdata,"",@progbits
; Kernel info:
; codeLenInByte = 0
; TotalNumSgprs: 6
; NumVgprs: 0
; NumAgprs: 0
; TotalNumVgprs: 0
; ScratchSize: 0
; MemoryBound: 0
; FloatMode: 240
; IeeeMode: 1
; LDSByteSize: 0 bytes/workgroup (compile time only)
; SGPRBlocks: 0
; VGPRBlocks: 0
; NumSGPRsForWavesPerEU: 6
; NumVGPRsForWavesPerEU: 1
; AccumOffset: 4
; Occupancy: 8
; WaveLimiterHint : 0
; COMPUTE_PGM_RSRC2:SCRATCH_EN: 0
; COMPUTE_PGM_RSRC2:USER_SGPR: 2
; COMPUTE_PGM_RSRC2:TRAP_HANDLER: 0
; COMPUTE_PGM_RSRC2:TGID_X_EN: 1
; COMPUTE_PGM_RSRC2:TGID_Y_EN: 0
; COMPUTE_PGM_RSRC2:TGID_Z_EN: 0
; COMPUTE_PGM_RSRC2:TIDIG_COMP_CNT: 0
; COMPUTE_PGM_RSRC3_GFX90A:ACCUM_OFFSET: 0
; COMPUTE_PGM_RSRC3_GFX90A:TG_SPLIT: 0
	.section	.text._ZN7rocprim17ROCPRIM_400000_NS6detail17trampoline_kernelINS0_14default_configENS1_21merge_config_selectorIiNS0_10empty_typeEEEZNS1_10merge_implIS3_N6thrust23THRUST_200600_302600_NS6detail15normal_iteratorINS9_10device_ptrIKiEEEESF_NSB_INSC_IiEEEEPS5_SI_SI_NS9_4lessIiEEEE10hipError_tPvRmT0_T1_T2_T3_T4_T5_mmT6_P12ihipStream_tbEUlT_E_NS1_11comp_targetILNS1_3genE2ELNS1_11target_archE906ELNS1_3gpuE6ELNS1_3repE0EEENS1_30default_config_static_selectorELNS0_4arch9wavefront6targetE1EEEvSP_,"axG",@progbits,_ZN7rocprim17ROCPRIM_400000_NS6detail17trampoline_kernelINS0_14default_configENS1_21merge_config_selectorIiNS0_10empty_typeEEEZNS1_10merge_implIS3_N6thrust23THRUST_200600_302600_NS6detail15normal_iteratorINS9_10device_ptrIKiEEEESF_NSB_INSC_IiEEEEPS5_SI_SI_NS9_4lessIiEEEE10hipError_tPvRmT0_T1_T2_T3_T4_T5_mmT6_P12ihipStream_tbEUlT_E_NS1_11comp_targetILNS1_3genE2ELNS1_11target_archE906ELNS1_3gpuE6ELNS1_3repE0EEENS1_30default_config_static_selectorELNS0_4arch9wavefront6targetE1EEEvSP_,comdat
	.protected	_ZN7rocprim17ROCPRIM_400000_NS6detail17trampoline_kernelINS0_14default_configENS1_21merge_config_selectorIiNS0_10empty_typeEEEZNS1_10merge_implIS3_N6thrust23THRUST_200600_302600_NS6detail15normal_iteratorINS9_10device_ptrIKiEEEESF_NSB_INSC_IiEEEEPS5_SI_SI_NS9_4lessIiEEEE10hipError_tPvRmT0_T1_T2_T3_T4_T5_mmT6_P12ihipStream_tbEUlT_E_NS1_11comp_targetILNS1_3genE2ELNS1_11target_archE906ELNS1_3gpuE6ELNS1_3repE0EEENS1_30default_config_static_selectorELNS0_4arch9wavefront6targetE1EEEvSP_ ; -- Begin function _ZN7rocprim17ROCPRIM_400000_NS6detail17trampoline_kernelINS0_14default_configENS1_21merge_config_selectorIiNS0_10empty_typeEEEZNS1_10merge_implIS3_N6thrust23THRUST_200600_302600_NS6detail15normal_iteratorINS9_10device_ptrIKiEEEESF_NSB_INSC_IiEEEEPS5_SI_SI_NS9_4lessIiEEEE10hipError_tPvRmT0_T1_T2_T3_T4_T5_mmT6_P12ihipStream_tbEUlT_E_NS1_11comp_targetILNS1_3genE2ELNS1_11target_archE906ELNS1_3gpuE6ELNS1_3repE0EEENS1_30default_config_static_selectorELNS0_4arch9wavefront6targetE1EEEvSP_
	.globl	_ZN7rocprim17ROCPRIM_400000_NS6detail17trampoline_kernelINS0_14default_configENS1_21merge_config_selectorIiNS0_10empty_typeEEEZNS1_10merge_implIS3_N6thrust23THRUST_200600_302600_NS6detail15normal_iteratorINS9_10device_ptrIKiEEEESF_NSB_INSC_IiEEEEPS5_SI_SI_NS9_4lessIiEEEE10hipError_tPvRmT0_T1_T2_T3_T4_T5_mmT6_P12ihipStream_tbEUlT_E_NS1_11comp_targetILNS1_3genE2ELNS1_11target_archE906ELNS1_3gpuE6ELNS1_3repE0EEENS1_30default_config_static_selectorELNS0_4arch9wavefront6targetE1EEEvSP_
	.p2align	8
	.type	_ZN7rocprim17ROCPRIM_400000_NS6detail17trampoline_kernelINS0_14default_configENS1_21merge_config_selectorIiNS0_10empty_typeEEEZNS1_10merge_implIS3_N6thrust23THRUST_200600_302600_NS6detail15normal_iteratorINS9_10device_ptrIKiEEEESF_NSB_INSC_IiEEEEPS5_SI_SI_NS9_4lessIiEEEE10hipError_tPvRmT0_T1_T2_T3_T4_T5_mmT6_P12ihipStream_tbEUlT_E_NS1_11comp_targetILNS1_3genE2ELNS1_11target_archE906ELNS1_3gpuE6ELNS1_3repE0EEENS1_30default_config_static_selectorELNS0_4arch9wavefront6targetE1EEEvSP_,@function
_ZN7rocprim17ROCPRIM_400000_NS6detail17trampoline_kernelINS0_14default_configENS1_21merge_config_selectorIiNS0_10empty_typeEEEZNS1_10merge_implIS3_N6thrust23THRUST_200600_302600_NS6detail15normal_iteratorINS9_10device_ptrIKiEEEESF_NSB_INSC_IiEEEEPS5_SI_SI_NS9_4lessIiEEEE10hipError_tPvRmT0_T1_T2_T3_T4_T5_mmT6_P12ihipStream_tbEUlT_E_NS1_11comp_targetILNS1_3genE2ELNS1_11target_archE906ELNS1_3gpuE6ELNS1_3repE0EEENS1_30default_config_static_selectorELNS0_4arch9wavefront6targetE1EEEvSP_: ; @_ZN7rocprim17ROCPRIM_400000_NS6detail17trampoline_kernelINS0_14default_configENS1_21merge_config_selectorIiNS0_10empty_typeEEEZNS1_10merge_implIS3_N6thrust23THRUST_200600_302600_NS6detail15normal_iteratorINS9_10device_ptrIKiEEEESF_NSB_INSC_IiEEEEPS5_SI_SI_NS9_4lessIiEEEE10hipError_tPvRmT0_T1_T2_T3_T4_T5_mmT6_P12ihipStream_tbEUlT_E_NS1_11comp_targetILNS1_3genE2ELNS1_11target_archE906ELNS1_3gpuE6ELNS1_3repE0EEENS1_30default_config_static_selectorELNS0_4arch9wavefront6targetE1EEEvSP_
; %bb.0:
	.section	.rodata,"a",@progbits
	.p2align	6, 0x0
	.amdhsa_kernel _ZN7rocprim17ROCPRIM_400000_NS6detail17trampoline_kernelINS0_14default_configENS1_21merge_config_selectorIiNS0_10empty_typeEEEZNS1_10merge_implIS3_N6thrust23THRUST_200600_302600_NS6detail15normal_iteratorINS9_10device_ptrIKiEEEESF_NSB_INSC_IiEEEEPS5_SI_SI_NS9_4lessIiEEEE10hipError_tPvRmT0_T1_T2_T3_T4_T5_mmT6_P12ihipStream_tbEUlT_E_NS1_11comp_targetILNS1_3genE2ELNS1_11target_archE906ELNS1_3gpuE6ELNS1_3repE0EEENS1_30default_config_static_selectorELNS0_4arch9wavefront6targetE1EEEvSP_
		.amdhsa_group_segment_fixed_size 0
		.amdhsa_private_segment_fixed_size 0
		.amdhsa_kernarg_size 48
		.amdhsa_user_sgpr_count 2
		.amdhsa_user_sgpr_dispatch_ptr 0
		.amdhsa_user_sgpr_queue_ptr 0
		.amdhsa_user_sgpr_kernarg_segment_ptr 1
		.amdhsa_user_sgpr_dispatch_id 0
		.amdhsa_user_sgpr_kernarg_preload_length 0
		.amdhsa_user_sgpr_kernarg_preload_offset 0
		.amdhsa_user_sgpr_private_segment_size 0
		.amdhsa_uses_dynamic_stack 0
		.amdhsa_enable_private_segment 0
		.amdhsa_system_sgpr_workgroup_id_x 1
		.amdhsa_system_sgpr_workgroup_id_y 0
		.amdhsa_system_sgpr_workgroup_id_z 0
		.amdhsa_system_sgpr_workgroup_info 0
		.amdhsa_system_vgpr_workitem_id 0
		.amdhsa_next_free_vgpr 1
		.amdhsa_next_free_sgpr 0
		.amdhsa_accum_offset 4
		.amdhsa_reserve_vcc 0
		.amdhsa_float_round_mode_32 0
		.amdhsa_float_round_mode_16_64 0
		.amdhsa_float_denorm_mode_32 3
		.amdhsa_float_denorm_mode_16_64 3
		.amdhsa_dx10_clamp 1
		.amdhsa_ieee_mode 1
		.amdhsa_fp16_overflow 0
		.amdhsa_tg_split 0
		.amdhsa_exception_fp_ieee_invalid_op 0
		.amdhsa_exception_fp_denorm_src 0
		.amdhsa_exception_fp_ieee_div_zero 0
		.amdhsa_exception_fp_ieee_overflow 0
		.amdhsa_exception_fp_ieee_underflow 0
		.amdhsa_exception_fp_ieee_inexact 0
		.amdhsa_exception_int_div_zero 0
	.end_amdhsa_kernel
	.section	.text._ZN7rocprim17ROCPRIM_400000_NS6detail17trampoline_kernelINS0_14default_configENS1_21merge_config_selectorIiNS0_10empty_typeEEEZNS1_10merge_implIS3_N6thrust23THRUST_200600_302600_NS6detail15normal_iteratorINS9_10device_ptrIKiEEEESF_NSB_INSC_IiEEEEPS5_SI_SI_NS9_4lessIiEEEE10hipError_tPvRmT0_T1_T2_T3_T4_T5_mmT6_P12ihipStream_tbEUlT_E_NS1_11comp_targetILNS1_3genE2ELNS1_11target_archE906ELNS1_3gpuE6ELNS1_3repE0EEENS1_30default_config_static_selectorELNS0_4arch9wavefront6targetE1EEEvSP_,"axG",@progbits,_ZN7rocprim17ROCPRIM_400000_NS6detail17trampoline_kernelINS0_14default_configENS1_21merge_config_selectorIiNS0_10empty_typeEEEZNS1_10merge_implIS3_N6thrust23THRUST_200600_302600_NS6detail15normal_iteratorINS9_10device_ptrIKiEEEESF_NSB_INSC_IiEEEEPS5_SI_SI_NS9_4lessIiEEEE10hipError_tPvRmT0_T1_T2_T3_T4_T5_mmT6_P12ihipStream_tbEUlT_E_NS1_11comp_targetILNS1_3genE2ELNS1_11target_archE906ELNS1_3gpuE6ELNS1_3repE0EEENS1_30default_config_static_selectorELNS0_4arch9wavefront6targetE1EEEvSP_,comdat
.Lfunc_end5:
	.size	_ZN7rocprim17ROCPRIM_400000_NS6detail17trampoline_kernelINS0_14default_configENS1_21merge_config_selectorIiNS0_10empty_typeEEEZNS1_10merge_implIS3_N6thrust23THRUST_200600_302600_NS6detail15normal_iteratorINS9_10device_ptrIKiEEEESF_NSB_INSC_IiEEEEPS5_SI_SI_NS9_4lessIiEEEE10hipError_tPvRmT0_T1_T2_T3_T4_T5_mmT6_P12ihipStream_tbEUlT_E_NS1_11comp_targetILNS1_3genE2ELNS1_11target_archE906ELNS1_3gpuE6ELNS1_3repE0EEENS1_30default_config_static_selectorELNS0_4arch9wavefront6targetE1EEEvSP_, .Lfunc_end5-_ZN7rocprim17ROCPRIM_400000_NS6detail17trampoline_kernelINS0_14default_configENS1_21merge_config_selectorIiNS0_10empty_typeEEEZNS1_10merge_implIS3_N6thrust23THRUST_200600_302600_NS6detail15normal_iteratorINS9_10device_ptrIKiEEEESF_NSB_INSC_IiEEEEPS5_SI_SI_NS9_4lessIiEEEE10hipError_tPvRmT0_T1_T2_T3_T4_T5_mmT6_P12ihipStream_tbEUlT_E_NS1_11comp_targetILNS1_3genE2ELNS1_11target_archE906ELNS1_3gpuE6ELNS1_3repE0EEENS1_30default_config_static_selectorELNS0_4arch9wavefront6targetE1EEEvSP_
                                        ; -- End function
	.set _ZN7rocprim17ROCPRIM_400000_NS6detail17trampoline_kernelINS0_14default_configENS1_21merge_config_selectorIiNS0_10empty_typeEEEZNS1_10merge_implIS3_N6thrust23THRUST_200600_302600_NS6detail15normal_iteratorINS9_10device_ptrIKiEEEESF_NSB_INSC_IiEEEEPS5_SI_SI_NS9_4lessIiEEEE10hipError_tPvRmT0_T1_T2_T3_T4_T5_mmT6_P12ihipStream_tbEUlT_E_NS1_11comp_targetILNS1_3genE2ELNS1_11target_archE906ELNS1_3gpuE6ELNS1_3repE0EEENS1_30default_config_static_selectorELNS0_4arch9wavefront6targetE1EEEvSP_.num_vgpr, 0
	.set _ZN7rocprim17ROCPRIM_400000_NS6detail17trampoline_kernelINS0_14default_configENS1_21merge_config_selectorIiNS0_10empty_typeEEEZNS1_10merge_implIS3_N6thrust23THRUST_200600_302600_NS6detail15normal_iteratorINS9_10device_ptrIKiEEEESF_NSB_INSC_IiEEEEPS5_SI_SI_NS9_4lessIiEEEE10hipError_tPvRmT0_T1_T2_T3_T4_T5_mmT6_P12ihipStream_tbEUlT_E_NS1_11comp_targetILNS1_3genE2ELNS1_11target_archE906ELNS1_3gpuE6ELNS1_3repE0EEENS1_30default_config_static_selectorELNS0_4arch9wavefront6targetE1EEEvSP_.num_agpr, 0
	.set _ZN7rocprim17ROCPRIM_400000_NS6detail17trampoline_kernelINS0_14default_configENS1_21merge_config_selectorIiNS0_10empty_typeEEEZNS1_10merge_implIS3_N6thrust23THRUST_200600_302600_NS6detail15normal_iteratorINS9_10device_ptrIKiEEEESF_NSB_INSC_IiEEEEPS5_SI_SI_NS9_4lessIiEEEE10hipError_tPvRmT0_T1_T2_T3_T4_T5_mmT6_P12ihipStream_tbEUlT_E_NS1_11comp_targetILNS1_3genE2ELNS1_11target_archE906ELNS1_3gpuE6ELNS1_3repE0EEENS1_30default_config_static_selectorELNS0_4arch9wavefront6targetE1EEEvSP_.numbered_sgpr, 0
	.set _ZN7rocprim17ROCPRIM_400000_NS6detail17trampoline_kernelINS0_14default_configENS1_21merge_config_selectorIiNS0_10empty_typeEEEZNS1_10merge_implIS3_N6thrust23THRUST_200600_302600_NS6detail15normal_iteratorINS9_10device_ptrIKiEEEESF_NSB_INSC_IiEEEEPS5_SI_SI_NS9_4lessIiEEEE10hipError_tPvRmT0_T1_T2_T3_T4_T5_mmT6_P12ihipStream_tbEUlT_E_NS1_11comp_targetILNS1_3genE2ELNS1_11target_archE906ELNS1_3gpuE6ELNS1_3repE0EEENS1_30default_config_static_selectorELNS0_4arch9wavefront6targetE1EEEvSP_.num_named_barrier, 0
	.set _ZN7rocprim17ROCPRIM_400000_NS6detail17trampoline_kernelINS0_14default_configENS1_21merge_config_selectorIiNS0_10empty_typeEEEZNS1_10merge_implIS3_N6thrust23THRUST_200600_302600_NS6detail15normal_iteratorINS9_10device_ptrIKiEEEESF_NSB_INSC_IiEEEEPS5_SI_SI_NS9_4lessIiEEEE10hipError_tPvRmT0_T1_T2_T3_T4_T5_mmT6_P12ihipStream_tbEUlT_E_NS1_11comp_targetILNS1_3genE2ELNS1_11target_archE906ELNS1_3gpuE6ELNS1_3repE0EEENS1_30default_config_static_selectorELNS0_4arch9wavefront6targetE1EEEvSP_.private_seg_size, 0
	.set _ZN7rocprim17ROCPRIM_400000_NS6detail17trampoline_kernelINS0_14default_configENS1_21merge_config_selectorIiNS0_10empty_typeEEEZNS1_10merge_implIS3_N6thrust23THRUST_200600_302600_NS6detail15normal_iteratorINS9_10device_ptrIKiEEEESF_NSB_INSC_IiEEEEPS5_SI_SI_NS9_4lessIiEEEE10hipError_tPvRmT0_T1_T2_T3_T4_T5_mmT6_P12ihipStream_tbEUlT_E_NS1_11comp_targetILNS1_3genE2ELNS1_11target_archE906ELNS1_3gpuE6ELNS1_3repE0EEENS1_30default_config_static_selectorELNS0_4arch9wavefront6targetE1EEEvSP_.uses_vcc, 0
	.set _ZN7rocprim17ROCPRIM_400000_NS6detail17trampoline_kernelINS0_14default_configENS1_21merge_config_selectorIiNS0_10empty_typeEEEZNS1_10merge_implIS3_N6thrust23THRUST_200600_302600_NS6detail15normal_iteratorINS9_10device_ptrIKiEEEESF_NSB_INSC_IiEEEEPS5_SI_SI_NS9_4lessIiEEEE10hipError_tPvRmT0_T1_T2_T3_T4_T5_mmT6_P12ihipStream_tbEUlT_E_NS1_11comp_targetILNS1_3genE2ELNS1_11target_archE906ELNS1_3gpuE6ELNS1_3repE0EEENS1_30default_config_static_selectorELNS0_4arch9wavefront6targetE1EEEvSP_.uses_flat_scratch, 0
	.set _ZN7rocprim17ROCPRIM_400000_NS6detail17trampoline_kernelINS0_14default_configENS1_21merge_config_selectorIiNS0_10empty_typeEEEZNS1_10merge_implIS3_N6thrust23THRUST_200600_302600_NS6detail15normal_iteratorINS9_10device_ptrIKiEEEESF_NSB_INSC_IiEEEEPS5_SI_SI_NS9_4lessIiEEEE10hipError_tPvRmT0_T1_T2_T3_T4_T5_mmT6_P12ihipStream_tbEUlT_E_NS1_11comp_targetILNS1_3genE2ELNS1_11target_archE906ELNS1_3gpuE6ELNS1_3repE0EEENS1_30default_config_static_selectorELNS0_4arch9wavefront6targetE1EEEvSP_.has_dyn_sized_stack, 0
	.set _ZN7rocprim17ROCPRIM_400000_NS6detail17trampoline_kernelINS0_14default_configENS1_21merge_config_selectorIiNS0_10empty_typeEEEZNS1_10merge_implIS3_N6thrust23THRUST_200600_302600_NS6detail15normal_iteratorINS9_10device_ptrIKiEEEESF_NSB_INSC_IiEEEEPS5_SI_SI_NS9_4lessIiEEEE10hipError_tPvRmT0_T1_T2_T3_T4_T5_mmT6_P12ihipStream_tbEUlT_E_NS1_11comp_targetILNS1_3genE2ELNS1_11target_archE906ELNS1_3gpuE6ELNS1_3repE0EEENS1_30default_config_static_selectorELNS0_4arch9wavefront6targetE1EEEvSP_.has_recursion, 0
	.set _ZN7rocprim17ROCPRIM_400000_NS6detail17trampoline_kernelINS0_14default_configENS1_21merge_config_selectorIiNS0_10empty_typeEEEZNS1_10merge_implIS3_N6thrust23THRUST_200600_302600_NS6detail15normal_iteratorINS9_10device_ptrIKiEEEESF_NSB_INSC_IiEEEEPS5_SI_SI_NS9_4lessIiEEEE10hipError_tPvRmT0_T1_T2_T3_T4_T5_mmT6_P12ihipStream_tbEUlT_E_NS1_11comp_targetILNS1_3genE2ELNS1_11target_archE906ELNS1_3gpuE6ELNS1_3repE0EEENS1_30default_config_static_selectorELNS0_4arch9wavefront6targetE1EEEvSP_.has_indirect_call, 0
	.section	.AMDGPU.csdata,"",@progbits
; Kernel info:
; codeLenInByte = 0
; TotalNumSgprs: 6
; NumVgprs: 0
; NumAgprs: 0
; TotalNumVgprs: 0
; ScratchSize: 0
; MemoryBound: 0
; FloatMode: 240
; IeeeMode: 1
; LDSByteSize: 0 bytes/workgroup (compile time only)
; SGPRBlocks: 0
; VGPRBlocks: 0
; NumSGPRsForWavesPerEU: 6
; NumVGPRsForWavesPerEU: 1
; AccumOffset: 4
; Occupancy: 8
; WaveLimiterHint : 0
; COMPUTE_PGM_RSRC2:SCRATCH_EN: 0
; COMPUTE_PGM_RSRC2:USER_SGPR: 2
; COMPUTE_PGM_RSRC2:TRAP_HANDLER: 0
; COMPUTE_PGM_RSRC2:TGID_X_EN: 1
; COMPUTE_PGM_RSRC2:TGID_Y_EN: 0
; COMPUTE_PGM_RSRC2:TGID_Z_EN: 0
; COMPUTE_PGM_RSRC2:TIDIG_COMP_CNT: 0
; COMPUTE_PGM_RSRC3_GFX90A:ACCUM_OFFSET: 0
; COMPUTE_PGM_RSRC3_GFX90A:TG_SPLIT: 0
	.section	.text._ZN7rocprim17ROCPRIM_400000_NS6detail17trampoline_kernelINS0_14default_configENS1_21merge_config_selectorIiNS0_10empty_typeEEEZNS1_10merge_implIS3_N6thrust23THRUST_200600_302600_NS6detail15normal_iteratorINS9_10device_ptrIKiEEEESF_NSB_INSC_IiEEEEPS5_SI_SI_NS9_4lessIiEEEE10hipError_tPvRmT0_T1_T2_T3_T4_T5_mmT6_P12ihipStream_tbEUlT_E_NS1_11comp_targetILNS1_3genE10ELNS1_11target_archE1201ELNS1_3gpuE5ELNS1_3repE0EEENS1_30default_config_static_selectorELNS0_4arch9wavefront6targetE1EEEvSP_,"axG",@progbits,_ZN7rocprim17ROCPRIM_400000_NS6detail17trampoline_kernelINS0_14default_configENS1_21merge_config_selectorIiNS0_10empty_typeEEEZNS1_10merge_implIS3_N6thrust23THRUST_200600_302600_NS6detail15normal_iteratorINS9_10device_ptrIKiEEEESF_NSB_INSC_IiEEEEPS5_SI_SI_NS9_4lessIiEEEE10hipError_tPvRmT0_T1_T2_T3_T4_T5_mmT6_P12ihipStream_tbEUlT_E_NS1_11comp_targetILNS1_3genE10ELNS1_11target_archE1201ELNS1_3gpuE5ELNS1_3repE0EEENS1_30default_config_static_selectorELNS0_4arch9wavefront6targetE1EEEvSP_,comdat
	.protected	_ZN7rocprim17ROCPRIM_400000_NS6detail17trampoline_kernelINS0_14default_configENS1_21merge_config_selectorIiNS0_10empty_typeEEEZNS1_10merge_implIS3_N6thrust23THRUST_200600_302600_NS6detail15normal_iteratorINS9_10device_ptrIKiEEEESF_NSB_INSC_IiEEEEPS5_SI_SI_NS9_4lessIiEEEE10hipError_tPvRmT0_T1_T2_T3_T4_T5_mmT6_P12ihipStream_tbEUlT_E_NS1_11comp_targetILNS1_3genE10ELNS1_11target_archE1201ELNS1_3gpuE5ELNS1_3repE0EEENS1_30default_config_static_selectorELNS0_4arch9wavefront6targetE1EEEvSP_ ; -- Begin function _ZN7rocprim17ROCPRIM_400000_NS6detail17trampoline_kernelINS0_14default_configENS1_21merge_config_selectorIiNS0_10empty_typeEEEZNS1_10merge_implIS3_N6thrust23THRUST_200600_302600_NS6detail15normal_iteratorINS9_10device_ptrIKiEEEESF_NSB_INSC_IiEEEEPS5_SI_SI_NS9_4lessIiEEEE10hipError_tPvRmT0_T1_T2_T3_T4_T5_mmT6_P12ihipStream_tbEUlT_E_NS1_11comp_targetILNS1_3genE10ELNS1_11target_archE1201ELNS1_3gpuE5ELNS1_3repE0EEENS1_30default_config_static_selectorELNS0_4arch9wavefront6targetE1EEEvSP_
	.globl	_ZN7rocprim17ROCPRIM_400000_NS6detail17trampoline_kernelINS0_14default_configENS1_21merge_config_selectorIiNS0_10empty_typeEEEZNS1_10merge_implIS3_N6thrust23THRUST_200600_302600_NS6detail15normal_iteratorINS9_10device_ptrIKiEEEESF_NSB_INSC_IiEEEEPS5_SI_SI_NS9_4lessIiEEEE10hipError_tPvRmT0_T1_T2_T3_T4_T5_mmT6_P12ihipStream_tbEUlT_E_NS1_11comp_targetILNS1_3genE10ELNS1_11target_archE1201ELNS1_3gpuE5ELNS1_3repE0EEENS1_30default_config_static_selectorELNS0_4arch9wavefront6targetE1EEEvSP_
	.p2align	8
	.type	_ZN7rocprim17ROCPRIM_400000_NS6detail17trampoline_kernelINS0_14default_configENS1_21merge_config_selectorIiNS0_10empty_typeEEEZNS1_10merge_implIS3_N6thrust23THRUST_200600_302600_NS6detail15normal_iteratorINS9_10device_ptrIKiEEEESF_NSB_INSC_IiEEEEPS5_SI_SI_NS9_4lessIiEEEE10hipError_tPvRmT0_T1_T2_T3_T4_T5_mmT6_P12ihipStream_tbEUlT_E_NS1_11comp_targetILNS1_3genE10ELNS1_11target_archE1201ELNS1_3gpuE5ELNS1_3repE0EEENS1_30default_config_static_selectorELNS0_4arch9wavefront6targetE1EEEvSP_,@function
_ZN7rocprim17ROCPRIM_400000_NS6detail17trampoline_kernelINS0_14default_configENS1_21merge_config_selectorIiNS0_10empty_typeEEEZNS1_10merge_implIS3_N6thrust23THRUST_200600_302600_NS6detail15normal_iteratorINS9_10device_ptrIKiEEEESF_NSB_INSC_IiEEEEPS5_SI_SI_NS9_4lessIiEEEE10hipError_tPvRmT0_T1_T2_T3_T4_T5_mmT6_P12ihipStream_tbEUlT_E_NS1_11comp_targetILNS1_3genE10ELNS1_11target_archE1201ELNS1_3gpuE5ELNS1_3repE0EEENS1_30default_config_static_selectorELNS0_4arch9wavefront6targetE1EEEvSP_: ; @_ZN7rocprim17ROCPRIM_400000_NS6detail17trampoline_kernelINS0_14default_configENS1_21merge_config_selectorIiNS0_10empty_typeEEEZNS1_10merge_implIS3_N6thrust23THRUST_200600_302600_NS6detail15normal_iteratorINS9_10device_ptrIKiEEEESF_NSB_INSC_IiEEEEPS5_SI_SI_NS9_4lessIiEEEE10hipError_tPvRmT0_T1_T2_T3_T4_T5_mmT6_P12ihipStream_tbEUlT_E_NS1_11comp_targetILNS1_3genE10ELNS1_11target_archE1201ELNS1_3gpuE5ELNS1_3repE0EEENS1_30default_config_static_selectorELNS0_4arch9wavefront6targetE1EEEvSP_
; %bb.0:
	.section	.rodata,"a",@progbits
	.p2align	6, 0x0
	.amdhsa_kernel _ZN7rocprim17ROCPRIM_400000_NS6detail17trampoline_kernelINS0_14default_configENS1_21merge_config_selectorIiNS0_10empty_typeEEEZNS1_10merge_implIS3_N6thrust23THRUST_200600_302600_NS6detail15normal_iteratorINS9_10device_ptrIKiEEEESF_NSB_INSC_IiEEEEPS5_SI_SI_NS9_4lessIiEEEE10hipError_tPvRmT0_T1_T2_T3_T4_T5_mmT6_P12ihipStream_tbEUlT_E_NS1_11comp_targetILNS1_3genE10ELNS1_11target_archE1201ELNS1_3gpuE5ELNS1_3repE0EEENS1_30default_config_static_selectorELNS0_4arch9wavefront6targetE1EEEvSP_
		.amdhsa_group_segment_fixed_size 0
		.amdhsa_private_segment_fixed_size 0
		.amdhsa_kernarg_size 48
		.amdhsa_user_sgpr_count 2
		.amdhsa_user_sgpr_dispatch_ptr 0
		.amdhsa_user_sgpr_queue_ptr 0
		.amdhsa_user_sgpr_kernarg_segment_ptr 1
		.amdhsa_user_sgpr_dispatch_id 0
		.amdhsa_user_sgpr_kernarg_preload_length 0
		.amdhsa_user_sgpr_kernarg_preload_offset 0
		.amdhsa_user_sgpr_private_segment_size 0
		.amdhsa_uses_dynamic_stack 0
		.amdhsa_enable_private_segment 0
		.amdhsa_system_sgpr_workgroup_id_x 1
		.amdhsa_system_sgpr_workgroup_id_y 0
		.amdhsa_system_sgpr_workgroup_id_z 0
		.amdhsa_system_sgpr_workgroup_info 0
		.amdhsa_system_vgpr_workitem_id 0
		.amdhsa_next_free_vgpr 1
		.amdhsa_next_free_sgpr 0
		.amdhsa_accum_offset 4
		.amdhsa_reserve_vcc 0
		.amdhsa_float_round_mode_32 0
		.amdhsa_float_round_mode_16_64 0
		.amdhsa_float_denorm_mode_32 3
		.amdhsa_float_denorm_mode_16_64 3
		.amdhsa_dx10_clamp 1
		.amdhsa_ieee_mode 1
		.amdhsa_fp16_overflow 0
		.amdhsa_tg_split 0
		.amdhsa_exception_fp_ieee_invalid_op 0
		.amdhsa_exception_fp_denorm_src 0
		.amdhsa_exception_fp_ieee_div_zero 0
		.amdhsa_exception_fp_ieee_overflow 0
		.amdhsa_exception_fp_ieee_underflow 0
		.amdhsa_exception_fp_ieee_inexact 0
		.amdhsa_exception_int_div_zero 0
	.end_amdhsa_kernel
	.section	.text._ZN7rocprim17ROCPRIM_400000_NS6detail17trampoline_kernelINS0_14default_configENS1_21merge_config_selectorIiNS0_10empty_typeEEEZNS1_10merge_implIS3_N6thrust23THRUST_200600_302600_NS6detail15normal_iteratorINS9_10device_ptrIKiEEEESF_NSB_INSC_IiEEEEPS5_SI_SI_NS9_4lessIiEEEE10hipError_tPvRmT0_T1_T2_T3_T4_T5_mmT6_P12ihipStream_tbEUlT_E_NS1_11comp_targetILNS1_3genE10ELNS1_11target_archE1201ELNS1_3gpuE5ELNS1_3repE0EEENS1_30default_config_static_selectorELNS0_4arch9wavefront6targetE1EEEvSP_,"axG",@progbits,_ZN7rocprim17ROCPRIM_400000_NS6detail17trampoline_kernelINS0_14default_configENS1_21merge_config_selectorIiNS0_10empty_typeEEEZNS1_10merge_implIS3_N6thrust23THRUST_200600_302600_NS6detail15normal_iteratorINS9_10device_ptrIKiEEEESF_NSB_INSC_IiEEEEPS5_SI_SI_NS9_4lessIiEEEE10hipError_tPvRmT0_T1_T2_T3_T4_T5_mmT6_P12ihipStream_tbEUlT_E_NS1_11comp_targetILNS1_3genE10ELNS1_11target_archE1201ELNS1_3gpuE5ELNS1_3repE0EEENS1_30default_config_static_selectorELNS0_4arch9wavefront6targetE1EEEvSP_,comdat
.Lfunc_end6:
	.size	_ZN7rocprim17ROCPRIM_400000_NS6detail17trampoline_kernelINS0_14default_configENS1_21merge_config_selectorIiNS0_10empty_typeEEEZNS1_10merge_implIS3_N6thrust23THRUST_200600_302600_NS6detail15normal_iteratorINS9_10device_ptrIKiEEEESF_NSB_INSC_IiEEEEPS5_SI_SI_NS9_4lessIiEEEE10hipError_tPvRmT0_T1_T2_T3_T4_T5_mmT6_P12ihipStream_tbEUlT_E_NS1_11comp_targetILNS1_3genE10ELNS1_11target_archE1201ELNS1_3gpuE5ELNS1_3repE0EEENS1_30default_config_static_selectorELNS0_4arch9wavefront6targetE1EEEvSP_, .Lfunc_end6-_ZN7rocprim17ROCPRIM_400000_NS6detail17trampoline_kernelINS0_14default_configENS1_21merge_config_selectorIiNS0_10empty_typeEEEZNS1_10merge_implIS3_N6thrust23THRUST_200600_302600_NS6detail15normal_iteratorINS9_10device_ptrIKiEEEESF_NSB_INSC_IiEEEEPS5_SI_SI_NS9_4lessIiEEEE10hipError_tPvRmT0_T1_T2_T3_T4_T5_mmT6_P12ihipStream_tbEUlT_E_NS1_11comp_targetILNS1_3genE10ELNS1_11target_archE1201ELNS1_3gpuE5ELNS1_3repE0EEENS1_30default_config_static_selectorELNS0_4arch9wavefront6targetE1EEEvSP_
                                        ; -- End function
	.set _ZN7rocprim17ROCPRIM_400000_NS6detail17trampoline_kernelINS0_14default_configENS1_21merge_config_selectorIiNS0_10empty_typeEEEZNS1_10merge_implIS3_N6thrust23THRUST_200600_302600_NS6detail15normal_iteratorINS9_10device_ptrIKiEEEESF_NSB_INSC_IiEEEEPS5_SI_SI_NS9_4lessIiEEEE10hipError_tPvRmT0_T1_T2_T3_T4_T5_mmT6_P12ihipStream_tbEUlT_E_NS1_11comp_targetILNS1_3genE10ELNS1_11target_archE1201ELNS1_3gpuE5ELNS1_3repE0EEENS1_30default_config_static_selectorELNS0_4arch9wavefront6targetE1EEEvSP_.num_vgpr, 0
	.set _ZN7rocprim17ROCPRIM_400000_NS6detail17trampoline_kernelINS0_14default_configENS1_21merge_config_selectorIiNS0_10empty_typeEEEZNS1_10merge_implIS3_N6thrust23THRUST_200600_302600_NS6detail15normal_iteratorINS9_10device_ptrIKiEEEESF_NSB_INSC_IiEEEEPS5_SI_SI_NS9_4lessIiEEEE10hipError_tPvRmT0_T1_T2_T3_T4_T5_mmT6_P12ihipStream_tbEUlT_E_NS1_11comp_targetILNS1_3genE10ELNS1_11target_archE1201ELNS1_3gpuE5ELNS1_3repE0EEENS1_30default_config_static_selectorELNS0_4arch9wavefront6targetE1EEEvSP_.num_agpr, 0
	.set _ZN7rocprim17ROCPRIM_400000_NS6detail17trampoline_kernelINS0_14default_configENS1_21merge_config_selectorIiNS0_10empty_typeEEEZNS1_10merge_implIS3_N6thrust23THRUST_200600_302600_NS6detail15normal_iteratorINS9_10device_ptrIKiEEEESF_NSB_INSC_IiEEEEPS5_SI_SI_NS9_4lessIiEEEE10hipError_tPvRmT0_T1_T2_T3_T4_T5_mmT6_P12ihipStream_tbEUlT_E_NS1_11comp_targetILNS1_3genE10ELNS1_11target_archE1201ELNS1_3gpuE5ELNS1_3repE0EEENS1_30default_config_static_selectorELNS0_4arch9wavefront6targetE1EEEvSP_.numbered_sgpr, 0
	.set _ZN7rocprim17ROCPRIM_400000_NS6detail17trampoline_kernelINS0_14default_configENS1_21merge_config_selectorIiNS0_10empty_typeEEEZNS1_10merge_implIS3_N6thrust23THRUST_200600_302600_NS6detail15normal_iteratorINS9_10device_ptrIKiEEEESF_NSB_INSC_IiEEEEPS5_SI_SI_NS9_4lessIiEEEE10hipError_tPvRmT0_T1_T2_T3_T4_T5_mmT6_P12ihipStream_tbEUlT_E_NS1_11comp_targetILNS1_3genE10ELNS1_11target_archE1201ELNS1_3gpuE5ELNS1_3repE0EEENS1_30default_config_static_selectorELNS0_4arch9wavefront6targetE1EEEvSP_.num_named_barrier, 0
	.set _ZN7rocprim17ROCPRIM_400000_NS6detail17trampoline_kernelINS0_14default_configENS1_21merge_config_selectorIiNS0_10empty_typeEEEZNS1_10merge_implIS3_N6thrust23THRUST_200600_302600_NS6detail15normal_iteratorINS9_10device_ptrIKiEEEESF_NSB_INSC_IiEEEEPS5_SI_SI_NS9_4lessIiEEEE10hipError_tPvRmT0_T1_T2_T3_T4_T5_mmT6_P12ihipStream_tbEUlT_E_NS1_11comp_targetILNS1_3genE10ELNS1_11target_archE1201ELNS1_3gpuE5ELNS1_3repE0EEENS1_30default_config_static_selectorELNS0_4arch9wavefront6targetE1EEEvSP_.private_seg_size, 0
	.set _ZN7rocprim17ROCPRIM_400000_NS6detail17trampoline_kernelINS0_14default_configENS1_21merge_config_selectorIiNS0_10empty_typeEEEZNS1_10merge_implIS3_N6thrust23THRUST_200600_302600_NS6detail15normal_iteratorINS9_10device_ptrIKiEEEESF_NSB_INSC_IiEEEEPS5_SI_SI_NS9_4lessIiEEEE10hipError_tPvRmT0_T1_T2_T3_T4_T5_mmT6_P12ihipStream_tbEUlT_E_NS1_11comp_targetILNS1_3genE10ELNS1_11target_archE1201ELNS1_3gpuE5ELNS1_3repE0EEENS1_30default_config_static_selectorELNS0_4arch9wavefront6targetE1EEEvSP_.uses_vcc, 0
	.set _ZN7rocprim17ROCPRIM_400000_NS6detail17trampoline_kernelINS0_14default_configENS1_21merge_config_selectorIiNS0_10empty_typeEEEZNS1_10merge_implIS3_N6thrust23THRUST_200600_302600_NS6detail15normal_iteratorINS9_10device_ptrIKiEEEESF_NSB_INSC_IiEEEEPS5_SI_SI_NS9_4lessIiEEEE10hipError_tPvRmT0_T1_T2_T3_T4_T5_mmT6_P12ihipStream_tbEUlT_E_NS1_11comp_targetILNS1_3genE10ELNS1_11target_archE1201ELNS1_3gpuE5ELNS1_3repE0EEENS1_30default_config_static_selectorELNS0_4arch9wavefront6targetE1EEEvSP_.uses_flat_scratch, 0
	.set _ZN7rocprim17ROCPRIM_400000_NS6detail17trampoline_kernelINS0_14default_configENS1_21merge_config_selectorIiNS0_10empty_typeEEEZNS1_10merge_implIS3_N6thrust23THRUST_200600_302600_NS6detail15normal_iteratorINS9_10device_ptrIKiEEEESF_NSB_INSC_IiEEEEPS5_SI_SI_NS9_4lessIiEEEE10hipError_tPvRmT0_T1_T2_T3_T4_T5_mmT6_P12ihipStream_tbEUlT_E_NS1_11comp_targetILNS1_3genE10ELNS1_11target_archE1201ELNS1_3gpuE5ELNS1_3repE0EEENS1_30default_config_static_selectorELNS0_4arch9wavefront6targetE1EEEvSP_.has_dyn_sized_stack, 0
	.set _ZN7rocprim17ROCPRIM_400000_NS6detail17trampoline_kernelINS0_14default_configENS1_21merge_config_selectorIiNS0_10empty_typeEEEZNS1_10merge_implIS3_N6thrust23THRUST_200600_302600_NS6detail15normal_iteratorINS9_10device_ptrIKiEEEESF_NSB_INSC_IiEEEEPS5_SI_SI_NS9_4lessIiEEEE10hipError_tPvRmT0_T1_T2_T3_T4_T5_mmT6_P12ihipStream_tbEUlT_E_NS1_11comp_targetILNS1_3genE10ELNS1_11target_archE1201ELNS1_3gpuE5ELNS1_3repE0EEENS1_30default_config_static_selectorELNS0_4arch9wavefront6targetE1EEEvSP_.has_recursion, 0
	.set _ZN7rocprim17ROCPRIM_400000_NS6detail17trampoline_kernelINS0_14default_configENS1_21merge_config_selectorIiNS0_10empty_typeEEEZNS1_10merge_implIS3_N6thrust23THRUST_200600_302600_NS6detail15normal_iteratorINS9_10device_ptrIKiEEEESF_NSB_INSC_IiEEEEPS5_SI_SI_NS9_4lessIiEEEE10hipError_tPvRmT0_T1_T2_T3_T4_T5_mmT6_P12ihipStream_tbEUlT_E_NS1_11comp_targetILNS1_3genE10ELNS1_11target_archE1201ELNS1_3gpuE5ELNS1_3repE0EEENS1_30default_config_static_selectorELNS0_4arch9wavefront6targetE1EEEvSP_.has_indirect_call, 0
	.section	.AMDGPU.csdata,"",@progbits
; Kernel info:
; codeLenInByte = 0
; TotalNumSgprs: 6
; NumVgprs: 0
; NumAgprs: 0
; TotalNumVgprs: 0
; ScratchSize: 0
; MemoryBound: 0
; FloatMode: 240
; IeeeMode: 1
; LDSByteSize: 0 bytes/workgroup (compile time only)
; SGPRBlocks: 0
; VGPRBlocks: 0
; NumSGPRsForWavesPerEU: 6
; NumVGPRsForWavesPerEU: 1
; AccumOffset: 4
; Occupancy: 8
; WaveLimiterHint : 0
; COMPUTE_PGM_RSRC2:SCRATCH_EN: 0
; COMPUTE_PGM_RSRC2:USER_SGPR: 2
; COMPUTE_PGM_RSRC2:TRAP_HANDLER: 0
; COMPUTE_PGM_RSRC2:TGID_X_EN: 1
; COMPUTE_PGM_RSRC2:TGID_Y_EN: 0
; COMPUTE_PGM_RSRC2:TGID_Z_EN: 0
; COMPUTE_PGM_RSRC2:TIDIG_COMP_CNT: 0
; COMPUTE_PGM_RSRC3_GFX90A:ACCUM_OFFSET: 0
; COMPUTE_PGM_RSRC3_GFX90A:TG_SPLIT: 0
	.section	.text._ZN7rocprim17ROCPRIM_400000_NS6detail17trampoline_kernelINS0_14default_configENS1_21merge_config_selectorIiNS0_10empty_typeEEEZNS1_10merge_implIS3_N6thrust23THRUST_200600_302600_NS6detail15normal_iteratorINS9_10device_ptrIKiEEEESF_NSB_INSC_IiEEEEPS5_SI_SI_NS9_4lessIiEEEE10hipError_tPvRmT0_T1_T2_T3_T4_T5_mmT6_P12ihipStream_tbEUlT_E_NS1_11comp_targetILNS1_3genE10ELNS1_11target_archE1200ELNS1_3gpuE4ELNS1_3repE0EEENS1_30default_config_static_selectorELNS0_4arch9wavefront6targetE1EEEvSP_,"axG",@progbits,_ZN7rocprim17ROCPRIM_400000_NS6detail17trampoline_kernelINS0_14default_configENS1_21merge_config_selectorIiNS0_10empty_typeEEEZNS1_10merge_implIS3_N6thrust23THRUST_200600_302600_NS6detail15normal_iteratorINS9_10device_ptrIKiEEEESF_NSB_INSC_IiEEEEPS5_SI_SI_NS9_4lessIiEEEE10hipError_tPvRmT0_T1_T2_T3_T4_T5_mmT6_P12ihipStream_tbEUlT_E_NS1_11comp_targetILNS1_3genE10ELNS1_11target_archE1200ELNS1_3gpuE4ELNS1_3repE0EEENS1_30default_config_static_selectorELNS0_4arch9wavefront6targetE1EEEvSP_,comdat
	.protected	_ZN7rocprim17ROCPRIM_400000_NS6detail17trampoline_kernelINS0_14default_configENS1_21merge_config_selectorIiNS0_10empty_typeEEEZNS1_10merge_implIS3_N6thrust23THRUST_200600_302600_NS6detail15normal_iteratorINS9_10device_ptrIKiEEEESF_NSB_INSC_IiEEEEPS5_SI_SI_NS9_4lessIiEEEE10hipError_tPvRmT0_T1_T2_T3_T4_T5_mmT6_P12ihipStream_tbEUlT_E_NS1_11comp_targetILNS1_3genE10ELNS1_11target_archE1200ELNS1_3gpuE4ELNS1_3repE0EEENS1_30default_config_static_selectorELNS0_4arch9wavefront6targetE1EEEvSP_ ; -- Begin function _ZN7rocprim17ROCPRIM_400000_NS6detail17trampoline_kernelINS0_14default_configENS1_21merge_config_selectorIiNS0_10empty_typeEEEZNS1_10merge_implIS3_N6thrust23THRUST_200600_302600_NS6detail15normal_iteratorINS9_10device_ptrIKiEEEESF_NSB_INSC_IiEEEEPS5_SI_SI_NS9_4lessIiEEEE10hipError_tPvRmT0_T1_T2_T3_T4_T5_mmT6_P12ihipStream_tbEUlT_E_NS1_11comp_targetILNS1_3genE10ELNS1_11target_archE1200ELNS1_3gpuE4ELNS1_3repE0EEENS1_30default_config_static_selectorELNS0_4arch9wavefront6targetE1EEEvSP_
	.globl	_ZN7rocprim17ROCPRIM_400000_NS6detail17trampoline_kernelINS0_14default_configENS1_21merge_config_selectorIiNS0_10empty_typeEEEZNS1_10merge_implIS3_N6thrust23THRUST_200600_302600_NS6detail15normal_iteratorINS9_10device_ptrIKiEEEESF_NSB_INSC_IiEEEEPS5_SI_SI_NS9_4lessIiEEEE10hipError_tPvRmT0_T1_T2_T3_T4_T5_mmT6_P12ihipStream_tbEUlT_E_NS1_11comp_targetILNS1_3genE10ELNS1_11target_archE1200ELNS1_3gpuE4ELNS1_3repE0EEENS1_30default_config_static_selectorELNS0_4arch9wavefront6targetE1EEEvSP_
	.p2align	8
	.type	_ZN7rocprim17ROCPRIM_400000_NS6detail17trampoline_kernelINS0_14default_configENS1_21merge_config_selectorIiNS0_10empty_typeEEEZNS1_10merge_implIS3_N6thrust23THRUST_200600_302600_NS6detail15normal_iteratorINS9_10device_ptrIKiEEEESF_NSB_INSC_IiEEEEPS5_SI_SI_NS9_4lessIiEEEE10hipError_tPvRmT0_T1_T2_T3_T4_T5_mmT6_P12ihipStream_tbEUlT_E_NS1_11comp_targetILNS1_3genE10ELNS1_11target_archE1200ELNS1_3gpuE4ELNS1_3repE0EEENS1_30default_config_static_selectorELNS0_4arch9wavefront6targetE1EEEvSP_,@function
_ZN7rocprim17ROCPRIM_400000_NS6detail17trampoline_kernelINS0_14default_configENS1_21merge_config_selectorIiNS0_10empty_typeEEEZNS1_10merge_implIS3_N6thrust23THRUST_200600_302600_NS6detail15normal_iteratorINS9_10device_ptrIKiEEEESF_NSB_INSC_IiEEEEPS5_SI_SI_NS9_4lessIiEEEE10hipError_tPvRmT0_T1_T2_T3_T4_T5_mmT6_P12ihipStream_tbEUlT_E_NS1_11comp_targetILNS1_3genE10ELNS1_11target_archE1200ELNS1_3gpuE4ELNS1_3repE0EEENS1_30default_config_static_selectorELNS0_4arch9wavefront6targetE1EEEvSP_: ; @_ZN7rocprim17ROCPRIM_400000_NS6detail17trampoline_kernelINS0_14default_configENS1_21merge_config_selectorIiNS0_10empty_typeEEEZNS1_10merge_implIS3_N6thrust23THRUST_200600_302600_NS6detail15normal_iteratorINS9_10device_ptrIKiEEEESF_NSB_INSC_IiEEEEPS5_SI_SI_NS9_4lessIiEEEE10hipError_tPvRmT0_T1_T2_T3_T4_T5_mmT6_P12ihipStream_tbEUlT_E_NS1_11comp_targetILNS1_3genE10ELNS1_11target_archE1200ELNS1_3gpuE4ELNS1_3repE0EEENS1_30default_config_static_selectorELNS0_4arch9wavefront6targetE1EEEvSP_
; %bb.0:
	.section	.rodata,"a",@progbits
	.p2align	6, 0x0
	.amdhsa_kernel _ZN7rocprim17ROCPRIM_400000_NS6detail17trampoline_kernelINS0_14default_configENS1_21merge_config_selectorIiNS0_10empty_typeEEEZNS1_10merge_implIS3_N6thrust23THRUST_200600_302600_NS6detail15normal_iteratorINS9_10device_ptrIKiEEEESF_NSB_INSC_IiEEEEPS5_SI_SI_NS9_4lessIiEEEE10hipError_tPvRmT0_T1_T2_T3_T4_T5_mmT6_P12ihipStream_tbEUlT_E_NS1_11comp_targetILNS1_3genE10ELNS1_11target_archE1200ELNS1_3gpuE4ELNS1_3repE0EEENS1_30default_config_static_selectorELNS0_4arch9wavefront6targetE1EEEvSP_
		.amdhsa_group_segment_fixed_size 0
		.amdhsa_private_segment_fixed_size 0
		.amdhsa_kernarg_size 48
		.amdhsa_user_sgpr_count 2
		.amdhsa_user_sgpr_dispatch_ptr 0
		.amdhsa_user_sgpr_queue_ptr 0
		.amdhsa_user_sgpr_kernarg_segment_ptr 1
		.amdhsa_user_sgpr_dispatch_id 0
		.amdhsa_user_sgpr_kernarg_preload_length 0
		.amdhsa_user_sgpr_kernarg_preload_offset 0
		.amdhsa_user_sgpr_private_segment_size 0
		.amdhsa_uses_dynamic_stack 0
		.amdhsa_enable_private_segment 0
		.amdhsa_system_sgpr_workgroup_id_x 1
		.amdhsa_system_sgpr_workgroup_id_y 0
		.amdhsa_system_sgpr_workgroup_id_z 0
		.amdhsa_system_sgpr_workgroup_info 0
		.amdhsa_system_vgpr_workitem_id 0
		.amdhsa_next_free_vgpr 1
		.amdhsa_next_free_sgpr 0
		.amdhsa_accum_offset 4
		.amdhsa_reserve_vcc 0
		.amdhsa_float_round_mode_32 0
		.amdhsa_float_round_mode_16_64 0
		.amdhsa_float_denorm_mode_32 3
		.amdhsa_float_denorm_mode_16_64 3
		.amdhsa_dx10_clamp 1
		.amdhsa_ieee_mode 1
		.amdhsa_fp16_overflow 0
		.amdhsa_tg_split 0
		.amdhsa_exception_fp_ieee_invalid_op 0
		.amdhsa_exception_fp_denorm_src 0
		.amdhsa_exception_fp_ieee_div_zero 0
		.amdhsa_exception_fp_ieee_overflow 0
		.amdhsa_exception_fp_ieee_underflow 0
		.amdhsa_exception_fp_ieee_inexact 0
		.amdhsa_exception_int_div_zero 0
	.end_amdhsa_kernel
	.section	.text._ZN7rocprim17ROCPRIM_400000_NS6detail17trampoline_kernelINS0_14default_configENS1_21merge_config_selectorIiNS0_10empty_typeEEEZNS1_10merge_implIS3_N6thrust23THRUST_200600_302600_NS6detail15normal_iteratorINS9_10device_ptrIKiEEEESF_NSB_INSC_IiEEEEPS5_SI_SI_NS9_4lessIiEEEE10hipError_tPvRmT0_T1_T2_T3_T4_T5_mmT6_P12ihipStream_tbEUlT_E_NS1_11comp_targetILNS1_3genE10ELNS1_11target_archE1200ELNS1_3gpuE4ELNS1_3repE0EEENS1_30default_config_static_selectorELNS0_4arch9wavefront6targetE1EEEvSP_,"axG",@progbits,_ZN7rocprim17ROCPRIM_400000_NS6detail17trampoline_kernelINS0_14default_configENS1_21merge_config_selectorIiNS0_10empty_typeEEEZNS1_10merge_implIS3_N6thrust23THRUST_200600_302600_NS6detail15normal_iteratorINS9_10device_ptrIKiEEEESF_NSB_INSC_IiEEEEPS5_SI_SI_NS9_4lessIiEEEE10hipError_tPvRmT0_T1_T2_T3_T4_T5_mmT6_P12ihipStream_tbEUlT_E_NS1_11comp_targetILNS1_3genE10ELNS1_11target_archE1200ELNS1_3gpuE4ELNS1_3repE0EEENS1_30default_config_static_selectorELNS0_4arch9wavefront6targetE1EEEvSP_,comdat
.Lfunc_end7:
	.size	_ZN7rocprim17ROCPRIM_400000_NS6detail17trampoline_kernelINS0_14default_configENS1_21merge_config_selectorIiNS0_10empty_typeEEEZNS1_10merge_implIS3_N6thrust23THRUST_200600_302600_NS6detail15normal_iteratorINS9_10device_ptrIKiEEEESF_NSB_INSC_IiEEEEPS5_SI_SI_NS9_4lessIiEEEE10hipError_tPvRmT0_T1_T2_T3_T4_T5_mmT6_P12ihipStream_tbEUlT_E_NS1_11comp_targetILNS1_3genE10ELNS1_11target_archE1200ELNS1_3gpuE4ELNS1_3repE0EEENS1_30default_config_static_selectorELNS0_4arch9wavefront6targetE1EEEvSP_, .Lfunc_end7-_ZN7rocprim17ROCPRIM_400000_NS6detail17trampoline_kernelINS0_14default_configENS1_21merge_config_selectorIiNS0_10empty_typeEEEZNS1_10merge_implIS3_N6thrust23THRUST_200600_302600_NS6detail15normal_iteratorINS9_10device_ptrIKiEEEESF_NSB_INSC_IiEEEEPS5_SI_SI_NS9_4lessIiEEEE10hipError_tPvRmT0_T1_T2_T3_T4_T5_mmT6_P12ihipStream_tbEUlT_E_NS1_11comp_targetILNS1_3genE10ELNS1_11target_archE1200ELNS1_3gpuE4ELNS1_3repE0EEENS1_30default_config_static_selectorELNS0_4arch9wavefront6targetE1EEEvSP_
                                        ; -- End function
	.set _ZN7rocprim17ROCPRIM_400000_NS6detail17trampoline_kernelINS0_14default_configENS1_21merge_config_selectorIiNS0_10empty_typeEEEZNS1_10merge_implIS3_N6thrust23THRUST_200600_302600_NS6detail15normal_iteratorINS9_10device_ptrIKiEEEESF_NSB_INSC_IiEEEEPS5_SI_SI_NS9_4lessIiEEEE10hipError_tPvRmT0_T1_T2_T3_T4_T5_mmT6_P12ihipStream_tbEUlT_E_NS1_11comp_targetILNS1_3genE10ELNS1_11target_archE1200ELNS1_3gpuE4ELNS1_3repE0EEENS1_30default_config_static_selectorELNS0_4arch9wavefront6targetE1EEEvSP_.num_vgpr, 0
	.set _ZN7rocprim17ROCPRIM_400000_NS6detail17trampoline_kernelINS0_14default_configENS1_21merge_config_selectorIiNS0_10empty_typeEEEZNS1_10merge_implIS3_N6thrust23THRUST_200600_302600_NS6detail15normal_iteratorINS9_10device_ptrIKiEEEESF_NSB_INSC_IiEEEEPS5_SI_SI_NS9_4lessIiEEEE10hipError_tPvRmT0_T1_T2_T3_T4_T5_mmT6_P12ihipStream_tbEUlT_E_NS1_11comp_targetILNS1_3genE10ELNS1_11target_archE1200ELNS1_3gpuE4ELNS1_3repE0EEENS1_30default_config_static_selectorELNS0_4arch9wavefront6targetE1EEEvSP_.num_agpr, 0
	.set _ZN7rocprim17ROCPRIM_400000_NS6detail17trampoline_kernelINS0_14default_configENS1_21merge_config_selectorIiNS0_10empty_typeEEEZNS1_10merge_implIS3_N6thrust23THRUST_200600_302600_NS6detail15normal_iteratorINS9_10device_ptrIKiEEEESF_NSB_INSC_IiEEEEPS5_SI_SI_NS9_4lessIiEEEE10hipError_tPvRmT0_T1_T2_T3_T4_T5_mmT6_P12ihipStream_tbEUlT_E_NS1_11comp_targetILNS1_3genE10ELNS1_11target_archE1200ELNS1_3gpuE4ELNS1_3repE0EEENS1_30default_config_static_selectorELNS0_4arch9wavefront6targetE1EEEvSP_.numbered_sgpr, 0
	.set _ZN7rocprim17ROCPRIM_400000_NS6detail17trampoline_kernelINS0_14default_configENS1_21merge_config_selectorIiNS0_10empty_typeEEEZNS1_10merge_implIS3_N6thrust23THRUST_200600_302600_NS6detail15normal_iteratorINS9_10device_ptrIKiEEEESF_NSB_INSC_IiEEEEPS5_SI_SI_NS9_4lessIiEEEE10hipError_tPvRmT0_T1_T2_T3_T4_T5_mmT6_P12ihipStream_tbEUlT_E_NS1_11comp_targetILNS1_3genE10ELNS1_11target_archE1200ELNS1_3gpuE4ELNS1_3repE0EEENS1_30default_config_static_selectorELNS0_4arch9wavefront6targetE1EEEvSP_.num_named_barrier, 0
	.set _ZN7rocprim17ROCPRIM_400000_NS6detail17trampoline_kernelINS0_14default_configENS1_21merge_config_selectorIiNS0_10empty_typeEEEZNS1_10merge_implIS3_N6thrust23THRUST_200600_302600_NS6detail15normal_iteratorINS9_10device_ptrIKiEEEESF_NSB_INSC_IiEEEEPS5_SI_SI_NS9_4lessIiEEEE10hipError_tPvRmT0_T1_T2_T3_T4_T5_mmT6_P12ihipStream_tbEUlT_E_NS1_11comp_targetILNS1_3genE10ELNS1_11target_archE1200ELNS1_3gpuE4ELNS1_3repE0EEENS1_30default_config_static_selectorELNS0_4arch9wavefront6targetE1EEEvSP_.private_seg_size, 0
	.set _ZN7rocprim17ROCPRIM_400000_NS6detail17trampoline_kernelINS0_14default_configENS1_21merge_config_selectorIiNS0_10empty_typeEEEZNS1_10merge_implIS3_N6thrust23THRUST_200600_302600_NS6detail15normal_iteratorINS9_10device_ptrIKiEEEESF_NSB_INSC_IiEEEEPS5_SI_SI_NS9_4lessIiEEEE10hipError_tPvRmT0_T1_T2_T3_T4_T5_mmT6_P12ihipStream_tbEUlT_E_NS1_11comp_targetILNS1_3genE10ELNS1_11target_archE1200ELNS1_3gpuE4ELNS1_3repE0EEENS1_30default_config_static_selectorELNS0_4arch9wavefront6targetE1EEEvSP_.uses_vcc, 0
	.set _ZN7rocprim17ROCPRIM_400000_NS6detail17trampoline_kernelINS0_14default_configENS1_21merge_config_selectorIiNS0_10empty_typeEEEZNS1_10merge_implIS3_N6thrust23THRUST_200600_302600_NS6detail15normal_iteratorINS9_10device_ptrIKiEEEESF_NSB_INSC_IiEEEEPS5_SI_SI_NS9_4lessIiEEEE10hipError_tPvRmT0_T1_T2_T3_T4_T5_mmT6_P12ihipStream_tbEUlT_E_NS1_11comp_targetILNS1_3genE10ELNS1_11target_archE1200ELNS1_3gpuE4ELNS1_3repE0EEENS1_30default_config_static_selectorELNS0_4arch9wavefront6targetE1EEEvSP_.uses_flat_scratch, 0
	.set _ZN7rocprim17ROCPRIM_400000_NS6detail17trampoline_kernelINS0_14default_configENS1_21merge_config_selectorIiNS0_10empty_typeEEEZNS1_10merge_implIS3_N6thrust23THRUST_200600_302600_NS6detail15normal_iteratorINS9_10device_ptrIKiEEEESF_NSB_INSC_IiEEEEPS5_SI_SI_NS9_4lessIiEEEE10hipError_tPvRmT0_T1_T2_T3_T4_T5_mmT6_P12ihipStream_tbEUlT_E_NS1_11comp_targetILNS1_3genE10ELNS1_11target_archE1200ELNS1_3gpuE4ELNS1_3repE0EEENS1_30default_config_static_selectorELNS0_4arch9wavefront6targetE1EEEvSP_.has_dyn_sized_stack, 0
	.set _ZN7rocprim17ROCPRIM_400000_NS6detail17trampoline_kernelINS0_14default_configENS1_21merge_config_selectorIiNS0_10empty_typeEEEZNS1_10merge_implIS3_N6thrust23THRUST_200600_302600_NS6detail15normal_iteratorINS9_10device_ptrIKiEEEESF_NSB_INSC_IiEEEEPS5_SI_SI_NS9_4lessIiEEEE10hipError_tPvRmT0_T1_T2_T3_T4_T5_mmT6_P12ihipStream_tbEUlT_E_NS1_11comp_targetILNS1_3genE10ELNS1_11target_archE1200ELNS1_3gpuE4ELNS1_3repE0EEENS1_30default_config_static_selectorELNS0_4arch9wavefront6targetE1EEEvSP_.has_recursion, 0
	.set _ZN7rocprim17ROCPRIM_400000_NS6detail17trampoline_kernelINS0_14default_configENS1_21merge_config_selectorIiNS0_10empty_typeEEEZNS1_10merge_implIS3_N6thrust23THRUST_200600_302600_NS6detail15normal_iteratorINS9_10device_ptrIKiEEEESF_NSB_INSC_IiEEEEPS5_SI_SI_NS9_4lessIiEEEE10hipError_tPvRmT0_T1_T2_T3_T4_T5_mmT6_P12ihipStream_tbEUlT_E_NS1_11comp_targetILNS1_3genE10ELNS1_11target_archE1200ELNS1_3gpuE4ELNS1_3repE0EEENS1_30default_config_static_selectorELNS0_4arch9wavefront6targetE1EEEvSP_.has_indirect_call, 0
	.section	.AMDGPU.csdata,"",@progbits
; Kernel info:
; codeLenInByte = 0
; TotalNumSgprs: 6
; NumVgprs: 0
; NumAgprs: 0
; TotalNumVgprs: 0
; ScratchSize: 0
; MemoryBound: 0
; FloatMode: 240
; IeeeMode: 1
; LDSByteSize: 0 bytes/workgroup (compile time only)
; SGPRBlocks: 0
; VGPRBlocks: 0
; NumSGPRsForWavesPerEU: 6
; NumVGPRsForWavesPerEU: 1
; AccumOffset: 4
; Occupancy: 8
; WaveLimiterHint : 0
; COMPUTE_PGM_RSRC2:SCRATCH_EN: 0
; COMPUTE_PGM_RSRC2:USER_SGPR: 2
; COMPUTE_PGM_RSRC2:TRAP_HANDLER: 0
; COMPUTE_PGM_RSRC2:TGID_X_EN: 1
; COMPUTE_PGM_RSRC2:TGID_Y_EN: 0
; COMPUTE_PGM_RSRC2:TGID_Z_EN: 0
; COMPUTE_PGM_RSRC2:TIDIG_COMP_CNT: 0
; COMPUTE_PGM_RSRC3_GFX90A:ACCUM_OFFSET: 0
; COMPUTE_PGM_RSRC3_GFX90A:TG_SPLIT: 0
	.section	.text._ZN7rocprim17ROCPRIM_400000_NS6detail17trampoline_kernelINS0_14default_configENS1_21merge_config_selectorIiNS0_10empty_typeEEEZNS1_10merge_implIS3_N6thrust23THRUST_200600_302600_NS6detail15normal_iteratorINS9_10device_ptrIKiEEEESF_NSB_INSC_IiEEEEPS5_SI_SI_NS9_4lessIiEEEE10hipError_tPvRmT0_T1_T2_T3_T4_T5_mmT6_P12ihipStream_tbEUlT_E_NS1_11comp_targetILNS1_3genE9ELNS1_11target_archE1100ELNS1_3gpuE3ELNS1_3repE0EEENS1_30default_config_static_selectorELNS0_4arch9wavefront6targetE1EEEvSP_,"axG",@progbits,_ZN7rocprim17ROCPRIM_400000_NS6detail17trampoline_kernelINS0_14default_configENS1_21merge_config_selectorIiNS0_10empty_typeEEEZNS1_10merge_implIS3_N6thrust23THRUST_200600_302600_NS6detail15normal_iteratorINS9_10device_ptrIKiEEEESF_NSB_INSC_IiEEEEPS5_SI_SI_NS9_4lessIiEEEE10hipError_tPvRmT0_T1_T2_T3_T4_T5_mmT6_P12ihipStream_tbEUlT_E_NS1_11comp_targetILNS1_3genE9ELNS1_11target_archE1100ELNS1_3gpuE3ELNS1_3repE0EEENS1_30default_config_static_selectorELNS0_4arch9wavefront6targetE1EEEvSP_,comdat
	.protected	_ZN7rocprim17ROCPRIM_400000_NS6detail17trampoline_kernelINS0_14default_configENS1_21merge_config_selectorIiNS0_10empty_typeEEEZNS1_10merge_implIS3_N6thrust23THRUST_200600_302600_NS6detail15normal_iteratorINS9_10device_ptrIKiEEEESF_NSB_INSC_IiEEEEPS5_SI_SI_NS9_4lessIiEEEE10hipError_tPvRmT0_T1_T2_T3_T4_T5_mmT6_P12ihipStream_tbEUlT_E_NS1_11comp_targetILNS1_3genE9ELNS1_11target_archE1100ELNS1_3gpuE3ELNS1_3repE0EEENS1_30default_config_static_selectorELNS0_4arch9wavefront6targetE1EEEvSP_ ; -- Begin function _ZN7rocprim17ROCPRIM_400000_NS6detail17trampoline_kernelINS0_14default_configENS1_21merge_config_selectorIiNS0_10empty_typeEEEZNS1_10merge_implIS3_N6thrust23THRUST_200600_302600_NS6detail15normal_iteratorINS9_10device_ptrIKiEEEESF_NSB_INSC_IiEEEEPS5_SI_SI_NS9_4lessIiEEEE10hipError_tPvRmT0_T1_T2_T3_T4_T5_mmT6_P12ihipStream_tbEUlT_E_NS1_11comp_targetILNS1_3genE9ELNS1_11target_archE1100ELNS1_3gpuE3ELNS1_3repE0EEENS1_30default_config_static_selectorELNS0_4arch9wavefront6targetE1EEEvSP_
	.globl	_ZN7rocprim17ROCPRIM_400000_NS6detail17trampoline_kernelINS0_14default_configENS1_21merge_config_selectorIiNS0_10empty_typeEEEZNS1_10merge_implIS3_N6thrust23THRUST_200600_302600_NS6detail15normal_iteratorINS9_10device_ptrIKiEEEESF_NSB_INSC_IiEEEEPS5_SI_SI_NS9_4lessIiEEEE10hipError_tPvRmT0_T1_T2_T3_T4_T5_mmT6_P12ihipStream_tbEUlT_E_NS1_11comp_targetILNS1_3genE9ELNS1_11target_archE1100ELNS1_3gpuE3ELNS1_3repE0EEENS1_30default_config_static_selectorELNS0_4arch9wavefront6targetE1EEEvSP_
	.p2align	8
	.type	_ZN7rocprim17ROCPRIM_400000_NS6detail17trampoline_kernelINS0_14default_configENS1_21merge_config_selectorIiNS0_10empty_typeEEEZNS1_10merge_implIS3_N6thrust23THRUST_200600_302600_NS6detail15normal_iteratorINS9_10device_ptrIKiEEEESF_NSB_INSC_IiEEEEPS5_SI_SI_NS9_4lessIiEEEE10hipError_tPvRmT0_T1_T2_T3_T4_T5_mmT6_P12ihipStream_tbEUlT_E_NS1_11comp_targetILNS1_3genE9ELNS1_11target_archE1100ELNS1_3gpuE3ELNS1_3repE0EEENS1_30default_config_static_selectorELNS0_4arch9wavefront6targetE1EEEvSP_,@function
_ZN7rocprim17ROCPRIM_400000_NS6detail17trampoline_kernelINS0_14default_configENS1_21merge_config_selectorIiNS0_10empty_typeEEEZNS1_10merge_implIS3_N6thrust23THRUST_200600_302600_NS6detail15normal_iteratorINS9_10device_ptrIKiEEEESF_NSB_INSC_IiEEEEPS5_SI_SI_NS9_4lessIiEEEE10hipError_tPvRmT0_T1_T2_T3_T4_T5_mmT6_P12ihipStream_tbEUlT_E_NS1_11comp_targetILNS1_3genE9ELNS1_11target_archE1100ELNS1_3gpuE3ELNS1_3repE0EEENS1_30default_config_static_selectorELNS0_4arch9wavefront6targetE1EEEvSP_: ; @_ZN7rocprim17ROCPRIM_400000_NS6detail17trampoline_kernelINS0_14default_configENS1_21merge_config_selectorIiNS0_10empty_typeEEEZNS1_10merge_implIS3_N6thrust23THRUST_200600_302600_NS6detail15normal_iteratorINS9_10device_ptrIKiEEEESF_NSB_INSC_IiEEEEPS5_SI_SI_NS9_4lessIiEEEE10hipError_tPvRmT0_T1_T2_T3_T4_T5_mmT6_P12ihipStream_tbEUlT_E_NS1_11comp_targetILNS1_3genE9ELNS1_11target_archE1100ELNS1_3gpuE3ELNS1_3repE0EEENS1_30default_config_static_selectorELNS0_4arch9wavefront6targetE1EEEvSP_
; %bb.0:
	.section	.rodata,"a",@progbits
	.p2align	6, 0x0
	.amdhsa_kernel _ZN7rocprim17ROCPRIM_400000_NS6detail17trampoline_kernelINS0_14default_configENS1_21merge_config_selectorIiNS0_10empty_typeEEEZNS1_10merge_implIS3_N6thrust23THRUST_200600_302600_NS6detail15normal_iteratorINS9_10device_ptrIKiEEEESF_NSB_INSC_IiEEEEPS5_SI_SI_NS9_4lessIiEEEE10hipError_tPvRmT0_T1_T2_T3_T4_T5_mmT6_P12ihipStream_tbEUlT_E_NS1_11comp_targetILNS1_3genE9ELNS1_11target_archE1100ELNS1_3gpuE3ELNS1_3repE0EEENS1_30default_config_static_selectorELNS0_4arch9wavefront6targetE1EEEvSP_
		.amdhsa_group_segment_fixed_size 0
		.amdhsa_private_segment_fixed_size 0
		.amdhsa_kernarg_size 48
		.amdhsa_user_sgpr_count 2
		.amdhsa_user_sgpr_dispatch_ptr 0
		.amdhsa_user_sgpr_queue_ptr 0
		.amdhsa_user_sgpr_kernarg_segment_ptr 1
		.amdhsa_user_sgpr_dispatch_id 0
		.amdhsa_user_sgpr_kernarg_preload_length 0
		.amdhsa_user_sgpr_kernarg_preload_offset 0
		.amdhsa_user_sgpr_private_segment_size 0
		.amdhsa_uses_dynamic_stack 0
		.amdhsa_enable_private_segment 0
		.amdhsa_system_sgpr_workgroup_id_x 1
		.amdhsa_system_sgpr_workgroup_id_y 0
		.amdhsa_system_sgpr_workgroup_id_z 0
		.amdhsa_system_sgpr_workgroup_info 0
		.amdhsa_system_vgpr_workitem_id 0
		.amdhsa_next_free_vgpr 1
		.amdhsa_next_free_sgpr 0
		.amdhsa_accum_offset 4
		.amdhsa_reserve_vcc 0
		.amdhsa_float_round_mode_32 0
		.amdhsa_float_round_mode_16_64 0
		.amdhsa_float_denorm_mode_32 3
		.amdhsa_float_denorm_mode_16_64 3
		.amdhsa_dx10_clamp 1
		.amdhsa_ieee_mode 1
		.amdhsa_fp16_overflow 0
		.amdhsa_tg_split 0
		.amdhsa_exception_fp_ieee_invalid_op 0
		.amdhsa_exception_fp_denorm_src 0
		.amdhsa_exception_fp_ieee_div_zero 0
		.amdhsa_exception_fp_ieee_overflow 0
		.amdhsa_exception_fp_ieee_underflow 0
		.amdhsa_exception_fp_ieee_inexact 0
		.amdhsa_exception_int_div_zero 0
	.end_amdhsa_kernel
	.section	.text._ZN7rocprim17ROCPRIM_400000_NS6detail17trampoline_kernelINS0_14default_configENS1_21merge_config_selectorIiNS0_10empty_typeEEEZNS1_10merge_implIS3_N6thrust23THRUST_200600_302600_NS6detail15normal_iteratorINS9_10device_ptrIKiEEEESF_NSB_INSC_IiEEEEPS5_SI_SI_NS9_4lessIiEEEE10hipError_tPvRmT0_T1_T2_T3_T4_T5_mmT6_P12ihipStream_tbEUlT_E_NS1_11comp_targetILNS1_3genE9ELNS1_11target_archE1100ELNS1_3gpuE3ELNS1_3repE0EEENS1_30default_config_static_selectorELNS0_4arch9wavefront6targetE1EEEvSP_,"axG",@progbits,_ZN7rocprim17ROCPRIM_400000_NS6detail17trampoline_kernelINS0_14default_configENS1_21merge_config_selectorIiNS0_10empty_typeEEEZNS1_10merge_implIS3_N6thrust23THRUST_200600_302600_NS6detail15normal_iteratorINS9_10device_ptrIKiEEEESF_NSB_INSC_IiEEEEPS5_SI_SI_NS9_4lessIiEEEE10hipError_tPvRmT0_T1_T2_T3_T4_T5_mmT6_P12ihipStream_tbEUlT_E_NS1_11comp_targetILNS1_3genE9ELNS1_11target_archE1100ELNS1_3gpuE3ELNS1_3repE0EEENS1_30default_config_static_selectorELNS0_4arch9wavefront6targetE1EEEvSP_,comdat
.Lfunc_end8:
	.size	_ZN7rocprim17ROCPRIM_400000_NS6detail17trampoline_kernelINS0_14default_configENS1_21merge_config_selectorIiNS0_10empty_typeEEEZNS1_10merge_implIS3_N6thrust23THRUST_200600_302600_NS6detail15normal_iteratorINS9_10device_ptrIKiEEEESF_NSB_INSC_IiEEEEPS5_SI_SI_NS9_4lessIiEEEE10hipError_tPvRmT0_T1_T2_T3_T4_T5_mmT6_P12ihipStream_tbEUlT_E_NS1_11comp_targetILNS1_3genE9ELNS1_11target_archE1100ELNS1_3gpuE3ELNS1_3repE0EEENS1_30default_config_static_selectorELNS0_4arch9wavefront6targetE1EEEvSP_, .Lfunc_end8-_ZN7rocprim17ROCPRIM_400000_NS6detail17trampoline_kernelINS0_14default_configENS1_21merge_config_selectorIiNS0_10empty_typeEEEZNS1_10merge_implIS3_N6thrust23THRUST_200600_302600_NS6detail15normal_iteratorINS9_10device_ptrIKiEEEESF_NSB_INSC_IiEEEEPS5_SI_SI_NS9_4lessIiEEEE10hipError_tPvRmT0_T1_T2_T3_T4_T5_mmT6_P12ihipStream_tbEUlT_E_NS1_11comp_targetILNS1_3genE9ELNS1_11target_archE1100ELNS1_3gpuE3ELNS1_3repE0EEENS1_30default_config_static_selectorELNS0_4arch9wavefront6targetE1EEEvSP_
                                        ; -- End function
	.set _ZN7rocprim17ROCPRIM_400000_NS6detail17trampoline_kernelINS0_14default_configENS1_21merge_config_selectorIiNS0_10empty_typeEEEZNS1_10merge_implIS3_N6thrust23THRUST_200600_302600_NS6detail15normal_iteratorINS9_10device_ptrIKiEEEESF_NSB_INSC_IiEEEEPS5_SI_SI_NS9_4lessIiEEEE10hipError_tPvRmT0_T1_T2_T3_T4_T5_mmT6_P12ihipStream_tbEUlT_E_NS1_11comp_targetILNS1_3genE9ELNS1_11target_archE1100ELNS1_3gpuE3ELNS1_3repE0EEENS1_30default_config_static_selectorELNS0_4arch9wavefront6targetE1EEEvSP_.num_vgpr, 0
	.set _ZN7rocprim17ROCPRIM_400000_NS6detail17trampoline_kernelINS0_14default_configENS1_21merge_config_selectorIiNS0_10empty_typeEEEZNS1_10merge_implIS3_N6thrust23THRUST_200600_302600_NS6detail15normal_iteratorINS9_10device_ptrIKiEEEESF_NSB_INSC_IiEEEEPS5_SI_SI_NS9_4lessIiEEEE10hipError_tPvRmT0_T1_T2_T3_T4_T5_mmT6_P12ihipStream_tbEUlT_E_NS1_11comp_targetILNS1_3genE9ELNS1_11target_archE1100ELNS1_3gpuE3ELNS1_3repE0EEENS1_30default_config_static_selectorELNS0_4arch9wavefront6targetE1EEEvSP_.num_agpr, 0
	.set _ZN7rocprim17ROCPRIM_400000_NS6detail17trampoline_kernelINS0_14default_configENS1_21merge_config_selectorIiNS0_10empty_typeEEEZNS1_10merge_implIS3_N6thrust23THRUST_200600_302600_NS6detail15normal_iteratorINS9_10device_ptrIKiEEEESF_NSB_INSC_IiEEEEPS5_SI_SI_NS9_4lessIiEEEE10hipError_tPvRmT0_T1_T2_T3_T4_T5_mmT6_P12ihipStream_tbEUlT_E_NS1_11comp_targetILNS1_3genE9ELNS1_11target_archE1100ELNS1_3gpuE3ELNS1_3repE0EEENS1_30default_config_static_selectorELNS0_4arch9wavefront6targetE1EEEvSP_.numbered_sgpr, 0
	.set _ZN7rocprim17ROCPRIM_400000_NS6detail17trampoline_kernelINS0_14default_configENS1_21merge_config_selectorIiNS0_10empty_typeEEEZNS1_10merge_implIS3_N6thrust23THRUST_200600_302600_NS6detail15normal_iteratorINS9_10device_ptrIKiEEEESF_NSB_INSC_IiEEEEPS5_SI_SI_NS9_4lessIiEEEE10hipError_tPvRmT0_T1_T2_T3_T4_T5_mmT6_P12ihipStream_tbEUlT_E_NS1_11comp_targetILNS1_3genE9ELNS1_11target_archE1100ELNS1_3gpuE3ELNS1_3repE0EEENS1_30default_config_static_selectorELNS0_4arch9wavefront6targetE1EEEvSP_.num_named_barrier, 0
	.set _ZN7rocprim17ROCPRIM_400000_NS6detail17trampoline_kernelINS0_14default_configENS1_21merge_config_selectorIiNS0_10empty_typeEEEZNS1_10merge_implIS3_N6thrust23THRUST_200600_302600_NS6detail15normal_iteratorINS9_10device_ptrIKiEEEESF_NSB_INSC_IiEEEEPS5_SI_SI_NS9_4lessIiEEEE10hipError_tPvRmT0_T1_T2_T3_T4_T5_mmT6_P12ihipStream_tbEUlT_E_NS1_11comp_targetILNS1_3genE9ELNS1_11target_archE1100ELNS1_3gpuE3ELNS1_3repE0EEENS1_30default_config_static_selectorELNS0_4arch9wavefront6targetE1EEEvSP_.private_seg_size, 0
	.set _ZN7rocprim17ROCPRIM_400000_NS6detail17trampoline_kernelINS0_14default_configENS1_21merge_config_selectorIiNS0_10empty_typeEEEZNS1_10merge_implIS3_N6thrust23THRUST_200600_302600_NS6detail15normal_iteratorINS9_10device_ptrIKiEEEESF_NSB_INSC_IiEEEEPS5_SI_SI_NS9_4lessIiEEEE10hipError_tPvRmT0_T1_T2_T3_T4_T5_mmT6_P12ihipStream_tbEUlT_E_NS1_11comp_targetILNS1_3genE9ELNS1_11target_archE1100ELNS1_3gpuE3ELNS1_3repE0EEENS1_30default_config_static_selectorELNS0_4arch9wavefront6targetE1EEEvSP_.uses_vcc, 0
	.set _ZN7rocprim17ROCPRIM_400000_NS6detail17trampoline_kernelINS0_14default_configENS1_21merge_config_selectorIiNS0_10empty_typeEEEZNS1_10merge_implIS3_N6thrust23THRUST_200600_302600_NS6detail15normal_iteratorINS9_10device_ptrIKiEEEESF_NSB_INSC_IiEEEEPS5_SI_SI_NS9_4lessIiEEEE10hipError_tPvRmT0_T1_T2_T3_T4_T5_mmT6_P12ihipStream_tbEUlT_E_NS1_11comp_targetILNS1_3genE9ELNS1_11target_archE1100ELNS1_3gpuE3ELNS1_3repE0EEENS1_30default_config_static_selectorELNS0_4arch9wavefront6targetE1EEEvSP_.uses_flat_scratch, 0
	.set _ZN7rocprim17ROCPRIM_400000_NS6detail17trampoline_kernelINS0_14default_configENS1_21merge_config_selectorIiNS0_10empty_typeEEEZNS1_10merge_implIS3_N6thrust23THRUST_200600_302600_NS6detail15normal_iteratorINS9_10device_ptrIKiEEEESF_NSB_INSC_IiEEEEPS5_SI_SI_NS9_4lessIiEEEE10hipError_tPvRmT0_T1_T2_T3_T4_T5_mmT6_P12ihipStream_tbEUlT_E_NS1_11comp_targetILNS1_3genE9ELNS1_11target_archE1100ELNS1_3gpuE3ELNS1_3repE0EEENS1_30default_config_static_selectorELNS0_4arch9wavefront6targetE1EEEvSP_.has_dyn_sized_stack, 0
	.set _ZN7rocprim17ROCPRIM_400000_NS6detail17trampoline_kernelINS0_14default_configENS1_21merge_config_selectorIiNS0_10empty_typeEEEZNS1_10merge_implIS3_N6thrust23THRUST_200600_302600_NS6detail15normal_iteratorINS9_10device_ptrIKiEEEESF_NSB_INSC_IiEEEEPS5_SI_SI_NS9_4lessIiEEEE10hipError_tPvRmT0_T1_T2_T3_T4_T5_mmT6_P12ihipStream_tbEUlT_E_NS1_11comp_targetILNS1_3genE9ELNS1_11target_archE1100ELNS1_3gpuE3ELNS1_3repE0EEENS1_30default_config_static_selectorELNS0_4arch9wavefront6targetE1EEEvSP_.has_recursion, 0
	.set _ZN7rocprim17ROCPRIM_400000_NS6detail17trampoline_kernelINS0_14default_configENS1_21merge_config_selectorIiNS0_10empty_typeEEEZNS1_10merge_implIS3_N6thrust23THRUST_200600_302600_NS6detail15normal_iteratorINS9_10device_ptrIKiEEEESF_NSB_INSC_IiEEEEPS5_SI_SI_NS9_4lessIiEEEE10hipError_tPvRmT0_T1_T2_T3_T4_T5_mmT6_P12ihipStream_tbEUlT_E_NS1_11comp_targetILNS1_3genE9ELNS1_11target_archE1100ELNS1_3gpuE3ELNS1_3repE0EEENS1_30default_config_static_selectorELNS0_4arch9wavefront6targetE1EEEvSP_.has_indirect_call, 0
	.section	.AMDGPU.csdata,"",@progbits
; Kernel info:
; codeLenInByte = 0
; TotalNumSgprs: 6
; NumVgprs: 0
; NumAgprs: 0
; TotalNumVgprs: 0
; ScratchSize: 0
; MemoryBound: 0
; FloatMode: 240
; IeeeMode: 1
; LDSByteSize: 0 bytes/workgroup (compile time only)
; SGPRBlocks: 0
; VGPRBlocks: 0
; NumSGPRsForWavesPerEU: 6
; NumVGPRsForWavesPerEU: 1
; AccumOffset: 4
; Occupancy: 8
; WaveLimiterHint : 0
; COMPUTE_PGM_RSRC2:SCRATCH_EN: 0
; COMPUTE_PGM_RSRC2:USER_SGPR: 2
; COMPUTE_PGM_RSRC2:TRAP_HANDLER: 0
; COMPUTE_PGM_RSRC2:TGID_X_EN: 1
; COMPUTE_PGM_RSRC2:TGID_Y_EN: 0
; COMPUTE_PGM_RSRC2:TGID_Z_EN: 0
; COMPUTE_PGM_RSRC2:TIDIG_COMP_CNT: 0
; COMPUTE_PGM_RSRC3_GFX90A:ACCUM_OFFSET: 0
; COMPUTE_PGM_RSRC3_GFX90A:TG_SPLIT: 0
	.section	.text._ZN7rocprim17ROCPRIM_400000_NS6detail17trampoline_kernelINS0_14default_configENS1_21merge_config_selectorIiNS0_10empty_typeEEEZNS1_10merge_implIS3_N6thrust23THRUST_200600_302600_NS6detail15normal_iteratorINS9_10device_ptrIKiEEEESF_NSB_INSC_IiEEEEPS5_SI_SI_NS9_4lessIiEEEE10hipError_tPvRmT0_T1_T2_T3_T4_T5_mmT6_P12ihipStream_tbEUlT_E_NS1_11comp_targetILNS1_3genE8ELNS1_11target_archE1030ELNS1_3gpuE2ELNS1_3repE0EEENS1_30default_config_static_selectorELNS0_4arch9wavefront6targetE1EEEvSP_,"axG",@progbits,_ZN7rocprim17ROCPRIM_400000_NS6detail17trampoline_kernelINS0_14default_configENS1_21merge_config_selectorIiNS0_10empty_typeEEEZNS1_10merge_implIS3_N6thrust23THRUST_200600_302600_NS6detail15normal_iteratorINS9_10device_ptrIKiEEEESF_NSB_INSC_IiEEEEPS5_SI_SI_NS9_4lessIiEEEE10hipError_tPvRmT0_T1_T2_T3_T4_T5_mmT6_P12ihipStream_tbEUlT_E_NS1_11comp_targetILNS1_3genE8ELNS1_11target_archE1030ELNS1_3gpuE2ELNS1_3repE0EEENS1_30default_config_static_selectorELNS0_4arch9wavefront6targetE1EEEvSP_,comdat
	.protected	_ZN7rocprim17ROCPRIM_400000_NS6detail17trampoline_kernelINS0_14default_configENS1_21merge_config_selectorIiNS0_10empty_typeEEEZNS1_10merge_implIS3_N6thrust23THRUST_200600_302600_NS6detail15normal_iteratorINS9_10device_ptrIKiEEEESF_NSB_INSC_IiEEEEPS5_SI_SI_NS9_4lessIiEEEE10hipError_tPvRmT0_T1_T2_T3_T4_T5_mmT6_P12ihipStream_tbEUlT_E_NS1_11comp_targetILNS1_3genE8ELNS1_11target_archE1030ELNS1_3gpuE2ELNS1_3repE0EEENS1_30default_config_static_selectorELNS0_4arch9wavefront6targetE1EEEvSP_ ; -- Begin function _ZN7rocprim17ROCPRIM_400000_NS6detail17trampoline_kernelINS0_14default_configENS1_21merge_config_selectorIiNS0_10empty_typeEEEZNS1_10merge_implIS3_N6thrust23THRUST_200600_302600_NS6detail15normal_iteratorINS9_10device_ptrIKiEEEESF_NSB_INSC_IiEEEEPS5_SI_SI_NS9_4lessIiEEEE10hipError_tPvRmT0_T1_T2_T3_T4_T5_mmT6_P12ihipStream_tbEUlT_E_NS1_11comp_targetILNS1_3genE8ELNS1_11target_archE1030ELNS1_3gpuE2ELNS1_3repE0EEENS1_30default_config_static_selectorELNS0_4arch9wavefront6targetE1EEEvSP_
	.globl	_ZN7rocprim17ROCPRIM_400000_NS6detail17trampoline_kernelINS0_14default_configENS1_21merge_config_selectorIiNS0_10empty_typeEEEZNS1_10merge_implIS3_N6thrust23THRUST_200600_302600_NS6detail15normal_iteratorINS9_10device_ptrIKiEEEESF_NSB_INSC_IiEEEEPS5_SI_SI_NS9_4lessIiEEEE10hipError_tPvRmT0_T1_T2_T3_T4_T5_mmT6_P12ihipStream_tbEUlT_E_NS1_11comp_targetILNS1_3genE8ELNS1_11target_archE1030ELNS1_3gpuE2ELNS1_3repE0EEENS1_30default_config_static_selectorELNS0_4arch9wavefront6targetE1EEEvSP_
	.p2align	8
	.type	_ZN7rocprim17ROCPRIM_400000_NS6detail17trampoline_kernelINS0_14default_configENS1_21merge_config_selectorIiNS0_10empty_typeEEEZNS1_10merge_implIS3_N6thrust23THRUST_200600_302600_NS6detail15normal_iteratorINS9_10device_ptrIKiEEEESF_NSB_INSC_IiEEEEPS5_SI_SI_NS9_4lessIiEEEE10hipError_tPvRmT0_T1_T2_T3_T4_T5_mmT6_P12ihipStream_tbEUlT_E_NS1_11comp_targetILNS1_3genE8ELNS1_11target_archE1030ELNS1_3gpuE2ELNS1_3repE0EEENS1_30default_config_static_selectorELNS0_4arch9wavefront6targetE1EEEvSP_,@function
_ZN7rocprim17ROCPRIM_400000_NS6detail17trampoline_kernelINS0_14default_configENS1_21merge_config_selectorIiNS0_10empty_typeEEEZNS1_10merge_implIS3_N6thrust23THRUST_200600_302600_NS6detail15normal_iteratorINS9_10device_ptrIKiEEEESF_NSB_INSC_IiEEEEPS5_SI_SI_NS9_4lessIiEEEE10hipError_tPvRmT0_T1_T2_T3_T4_T5_mmT6_P12ihipStream_tbEUlT_E_NS1_11comp_targetILNS1_3genE8ELNS1_11target_archE1030ELNS1_3gpuE2ELNS1_3repE0EEENS1_30default_config_static_selectorELNS0_4arch9wavefront6targetE1EEEvSP_: ; @_ZN7rocprim17ROCPRIM_400000_NS6detail17trampoline_kernelINS0_14default_configENS1_21merge_config_selectorIiNS0_10empty_typeEEEZNS1_10merge_implIS3_N6thrust23THRUST_200600_302600_NS6detail15normal_iteratorINS9_10device_ptrIKiEEEESF_NSB_INSC_IiEEEEPS5_SI_SI_NS9_4lessIiEEEE10hipError_tPvRmT0_T1_T2_T3_T4_T5_mmT6_P12ihipStream_tbEUlT_E_NS1_11comp_targetILNS1_3genE8ELNS1_11target_archE1030ELNS1_3gpuE2ELNS1_3repE0EEENS1_30default_config_static_selectorELNS0_4arch9wavefront6targetE1EEEvSP_
; %bb.0:
	.section	.rodata,"a",@progbits
	.p2align	6, 0x0
	.amdhsa_kernel _ZN7rocprim17ROCPRIM_400000_NS6detail17trampoline_kernelINS0_14default_configENS1_21merge_config_selectorIiNS0_10empty_typeEEEZNS1_10merge_implIS3_N6thrust23THRUST_200600_302600_NS6detail15normal_iteratorINS9_10device_ptrIKiEEEESF_NSB_INSC_IiEEEEPS5_SI_SI_NS9_4lessIiEEEE10hipError_tPvRmT0_T1_T2_T3_T4_T5_mmT6_P12ihipStream_tbEUlT_E_NS1_11comp_targetILNS1_3genE8ELNS1_11target_archE1030ELNS1_3gpuE2ELNS1_3repE0EEENS1_30default_config_static_selectorELNS0_4arch9wavefront6targetE1EEEvSP_
		.amdhsa_group_segment_fixed_size 0
		.amdhsa_private_segment_fixed_size 0
		.amdhsa_kernarg_size 48
		.amdhsa_user_sgpr_count 2
		.amdhsa_user_sgpr_dispatch_ptr 0
		.amdhsa_user_sgpr_queue_ptr 0
		.amdhsa_user_sgpr_kernarg_segment_ptr 1
		.amdhsa_user_sgpr_dispatch_id 0
		.amdhsa_user_sgpr_kernarg_preload_length 0
		.amdhsa_user_sgpr_kernarg_preload_offset 0
		.amdhsa_user_sgpr_private_segment_size 0
		.amdhsa_uses_dynamic_stack 0
		.amdhsa_enable_private_segment 0
		.amdhsa_system_sgpr_workgroup_id_x 1
		.amdhsa_system_sgpr_workgroup_id_y 0
		.amdhsa_system_sgpr_workgroup_id_z 0
		.amdhsa_system_sgpr_workgroup_info 0
		.amdhsa_system_vgpr_workitem_id 0
		.amdhsa_next_free_vgpr 1
		.amdhsa_next_free_sgpr 0
		.amdhsa_accum_offset 4
		.amdhsa_reserve_vcc 0
		.amdhsa_float_round_mode_32 0
		.amdhsa_float_round_mode_16_64 0
		.amdhsa_float_denorm_mode_32 3
		.amdhsa_float_denorm_mode_16_64 3
		.amdhsa_dx10_clamp 1
		.amdhsa_ieee_mode 1
		.amdhsa_fp16_overflow 0
		.amdhsa_tg_split 0
		.amdhsa_exception_fp_ieee_invalid_op 0
		.amdhsa_exception_fp_denorm_src 0
		.amdhsa_exception_fp_ieee_div_zero 0
		.amdhsa_exception_fp_ieee_overflow 0
		.amdhsa_exception_fp_ieee_underflow 0
		.amdhsa_exception_fp_ieee_inexact 0
		.amdhsa_exception_int_div_zero 0
	.end_amdhsa_kernel
	.section	.text._ZN7rocprim17ROCPRIM_400000_NS6detail17trampoline_kernelINS0_14default_configENS1_21merge_config_selectorIiNS0_10empty_typeEEEZNS1_10merge_implIS3_N6thrust23THRUST_200600_302600_NS6detail15normal_iteratorINS9_10device_ptrIKiEEEESF_NSB_INSC_IiEEEEPS5_SI_SI_NS9_4lessIiEEEE10hipError_tPvRmT0_T1_T2_T3_T4_T5_mmT6_P12ihipStream_tbEUlT_E_NS1_11comp_targetILNS1_3genE8ELNS1_11target_archE1030ELNS1_3gpuE2ELNS1_3repE0EEENS1_30default_config_static_selectorELNS0_4arch9wavefront6targetE1EEEvSP_,"axG",@progbits,_ZN7rocprim17ROCPRIM_400000_NS6detail17trampoline_kernelINS0_14default_configENS1_21merge_config_selectorIiNS0_10empty_typeEEEZNS1_10merge_implIS3_N6thrust23THRUST_200600_302600_NS6detail15normal_iteratorINS9_10device_ptrIKiEEEESF_NSB_INSC_IiEEEEPS5_SI_SI_NS9_4lessIiEEEE10hipError_tPvRmT0_T1_T2_T3_T4_T5_mmT6_P12ihipStream_tbEUlT_E_NS1_11comp_targetILNS1_3genE8ELNS1_11target_archE1030ELNS1_3gpuE2ELNS1_3repE0EEENS1_30default_config_static_selectorELNS0_4arch9wavefront6targetE1EEEvSP_,comdat
.Lfunc_end9:
	.size	_ZN7rocprim17ROCPRIM_400000_NS6detail17trampoline_kernelINS0_14default_configENS1_21merge_config_selectorIiNS0_10empty_typeEEEZNS1_10merge_implIS3_N6thrust23THRUST_200600_302600_NS6detail15normal_iteratorINS9_10device_ptrIKiEEEESF_NSB_INSC_IiEEEEPS5_SI_SI_NS9_4lessIiEEEE10hipError_tPvRmT0_T1_T2_T3_T4_T5_mmT6_P12ihipStream_tbEUlT_E_NS1_11comp_targetILNS1_3genE8ELNS1_11target_archE1030ELNS1_3gpuE2ELNS1_3repE0EEENS1_30default_config_static_selectorELNS0_4arch9wavefront6targetE1EEEvSP_, .Lfunc_end9-_ZN7rocprim17ROCPRIM_400000_NS6detail17trampoline_kernelINS0_14default_configENS1_21merge_config_selectorIiNS0_10empty_typeEEEZNS1_10merge_implIS3_N6thrust23THRUST_200600_302600_NS6detail15normal_iteratorINS9_10device_ptrIKiEEEESF_NSB_INSC_IiEEEEPS5_SI_SI_NS9_4lessIiEEEE10hipError_tPvRmT0_T1_T2_T3_T4_T5_mmT6_P12ihipStream_tbEUlT_E_NS1_11comp_targetILNS1_3genE8ELNS1_11target_archE1030ELNS1_3gpuE2ELNS1_3repE0EEENS1_30default_config_static_selectorELNS0_4arch9wavefront6targetE1EEEvSP_
                                        ; -- End function
	.set _ZN7rocprim17ROCPRIM_400000_NS6detail17trampoline_kernelINS0_14default_configENS1_21merge_config_selectorIiNS0_10empty_typeEEEZNS1_10merge_implIS3_N6thrust23THRUST_200600_302600_NS6detail15normal_iteratorINS9_10device_ptrIKiEEEESF_NSB_INSC_IiEEEEPS5_SI_SI_NS9_4lessIiEEEE10hipError_tPvRmT0_T1_T2_T3_T4_T5_mmT6_P12ihipStream_tbEUlT_E_NS1_11comp_targetILNS1_3genE8ELNS1_11target_archE1030ELNS1_3gpuE2ELNS1_3repE0EEENS1_30default_config_static_selectorELNS0_4arch9wavefront6targetE1EEEvSP_.num_vgpr, 0
	.set _ZN7rocprim17ROCPRIM_400000_NS6detail17trampoline_kernelINS0_14default_configENS1_21merge_config_selectorIiNS0_10empty_typeEEEZNS1_10merge_implIS3_N6thrust23THRUST_200600_302600_NS6detail15normal_iteratorINS9_10device_ptrIKiEEEESF_NSB_INSC_IiEEEEPS5_SI_SI_NS9_4lessIiEEEE10hipError_tPvRmT0_T1_T2_T3_T4_T5_mmT6_P12ihipStream_tbEUlT_E_NS1_11comp_targetILNS1_3genE8ELNS1_11target_archE1030ELNS1_3gpuE2ELNS1_3repE0EEENS1_30default_config_static_selectorELNS0_4arch9wavefront6targetE1EEEvSP_.num_agpr, 0
	.set _ZN7rocprim17ROCPRIM_400000_NS6detail17trampoline_kernelINS0_14default_configENS1_21merge_config_selectorIiNS0_10empty_typeEEEZNS1_10merge_implIS3_N6thrust23THRUST_200600_302600_NS6detail15normal_iteratorINS9_10device_ptrIKiEEEESF_NSB_INSC_IiEEEEPS5_SI_SI_NS9_4lessIiEEEE10hipError_tPvRmT0_T1_T2_T3_T4_T5_mmT6_P12ihipStream_tbEUlT_E_NS1_11comp_targetILNS1_3genE8ELNS1_11target_archE1030ELNS1_3gpuE2ELNS1_3repE0EEENS1_30default_config_static_selectorELNS0_4arch9wavefront6targetE1EEEvSP_.numbered_sgpr, 0
	.set _ZN7rocprim17ROCPRIM_400000_NS6detail17trampoline_kernelINS0_14default_configENS1_21merge_config_selectorIiNS0_10empty_typeEEEZNS1_10merge_implIS3_N6thrust23THRUST_200600_302600_NS6detail15normal_iteratorINS9_10device_ptrIKiEEEESF_NSB_INSC_IiEEEEPS5_SI_SI_NS9_4lessIiEEEE10hipError_tPvRmT0_T1_T2_T3_T4_T5_mmT6_P12ihipStream_tbEUlT_E_NS1_11comp_targetILNS1_3genE8ELNS1_11target_archE1030ELNS1_3gpuE2ELNS1_3repE0EEENS1_30default_config_static_selectorELNS0_4arch9wavefront6targetE1EEEvSP_.num_named_barrier, 0
	.set _ZN7rocprim17ROCPRIM_400000_NS6detail17trampoline_kernelINS0_14default_configENS1_21merge_config_selectorIiNS0_10empty_typeEEEZNS1_10merge_implIS3_N6thrust23THRUST_200600_302600_NS6detail15normal_iteratorINS9_10device_ptrIKiEEEESF_NSB_INSC_IiEEEEPS5_SI_SI_NS9_4lessIiEEEE10hipError_tPvRmT0_T1_T2_T3_T4_T5_mmT6_P12ihipStream_tbEUlT_E_NS1_11comp_targetILNS1_3genE8ELNS1_11target_archE1030ELNS1_3gpuE2ELNS1_3repE0EEENS1_30default_config_static_selectorELNS0_4arch9wavefront6targetE1EEEvSP_.private_seg_size, 0
	.set _ZN7rocprim17ROCPRIM_400000_NS6detail17trampoline_kernelINS0_14default_configENS1_21merge_config_selectorIiNS0_10empty_typeEEEZNS1_10merge_implIS3_N6thrust23THRUST_200600_302600_NS6detail15normal_iteratorINS9_10device_ptrIKiEEEESF_NSB_INSC_IiEEEEPS5_SI_SI_NS9_4lessIiEEEE10hipError_tPvRmT0_T1_T2_T3_T4_T5_mmT6_P12ihipStream_tbEUlT_E_NS1_11comp_targetILNS1_3genE8ELNS1_11target_archE1030ELNS1_3gpuE2ELNS1_3repE0EEENS1_30default_config_static_selectorELNS0_4arch9wavefront6targetE1EEEvSP_.uses_vcc, 0
	.set _ZN7rocprim17ROCPRIM_400000_NS6detail17trampoline_kernelINS0_14default_configENS1_21merge_config_selectorIiNS0_10empty_typeEEEZNS1_10merge_implIS3_N6thrust23THRUST_200600_302600_NS6detail15normal_iteratorINS9_10device_ptrIKiEEEESF_NSB_INSC_IiEEEEPS5_SI_SI_NS9_4lessIiEEEE10hipError_tPvRmT0_T1_T2_T3_T4_T5_mmT6_P12ihipStream_tbEUlT_E_NS1_11comp_targetILNS1_3genE8ELNS1_11target_archE1030ELNS1_3gpuE2ELNS1_3repE0EEENS1_30default_config_static_selectorELNS0_4arch9wavefront6targetE1EEEvSP_.uses_flat_scratch, 0
	.set _ZN7rocprim17ROCPRIM_400000_NS6detail17trampoline_kernelINS0_14default_configENS1_21merge_config_selectorIiNS0_10empty_typeEEEZNS1_10merge_implIS3_N6thrust23THRUST_200600_302600_NS6detail15normal_iteratorINS9_10device_ptrIKiEEEESF_NSB_INSC_IiEEEEPS5_SI_SI_NS9_4lessIiEEEE10hipError_tPvRmT0_T1_T2_T3_T4_T5_mmT6_P12ihipStream_tbEUlT_E_NS1_11comp_targetILNS1_3genE8ELNS1_11target_archE1030ELNS1_3gpuE2ELNS1_3repE0EEENS1_30default_config_static_selectorELNS0_4arch9wavefront6targetE1EEEvSP_.has_dyn_sized_stack, 0
	.set _ZN7rocprim17ROCPRIM_400000_NS6detail17trampoline_kernelINS0_14default_configENS1_21merge_config_selectorIiNS0_10empty_typeEEEZNS1_10merge_implIS3_N6thrust23THRUST_200600_302600_NS6detail15normal_iteratorINS9_10device_ptrIKiEEEESF_NSB_INSC_IiEEEEPS5_SI_SI_NS9_4lessIiEEEE10hipError_tPvRmT0_T1_T2_T3_T4_T5_mmT6_P12ihipStream_tbEUlT_E_NS1_11comp_targetILNS1_3genE8ELNS1_11target_archE1030ELNS1_3gpuE2ELNS1_3repE0EEENS1_30default_config_static_selectorELNS0_4arch9wavefront6targetE1EEEvSP_.has_recursion, 0
	.set _ZN7rocprim17ROCPRIM_400000_NS6detail17trampoline_kernelINS0_14default_configENS1_21merge_config_selectorIiNS0_10empty_typeEEEZNS1_10merge_implIS3_N6thrust23THRUST_200600_302600_NS6detail15normal_iteratorINS9_10device_ptrIKiEEEESF_NSB_INSC_IiEEEEPS5_SI_SI_NS9_4lessIiEEEE10hipError_tPvRmT0_T1_T2_T3_T4_T5_mmT6_P12ihipStream_tbEUlT_E_NS1_11comp_targetILNS1_3genE8ELNS1_11target_archE1030ELNS1_3gpuE2ELNS1_3repE0EEENS1_30default_config_static_selectorELNS0_4arch9wavefront6targetE1EEEvSP_.has_indirect_call, 0
	.section	.AMDGPU.csdata,"",@progbits
; Kernel info:
; codeLenInByte = 0
; TotalNumSgprs: 6
; NumVgprs: 0
; NumAgprs: 0
; TotalNumVgprs: 0
; ScratchSize: 0
; MemoryBound: 0
; FloatMode: 240
; IeeeMode: 1
; LDSByteSize: 0 bytes/workgroup (compile time only)
; SGPRBlocks: 0
; VGPRBlocks: 0
; NumSGPRsForWavesPerEU: 6
; NumVGPRsForWavesPerEU: 1
; AccumOffset: 4
; Occupancy: 8
; WaveLimiterHint : 0
; COMPUTE_PGM_RSRC2:SCRATCH_EN: 0
; COMPUTE_PGM_RSRC2:USER_SGPR: 2
; COMPUTE_PGM_RSRC2:TRAP_HANDLER: 0
; COMPUTE_PGM_RSRC2:TGID_X_EN: 1
; COMPUTE_PGM_RSRC2:TGID_Y_EN: 0
; COMPUTE_PGM_RSRC2:TGID_Z_EN: 0
; COMPUTE_PGM_RSRC2:TIDIG_COMP_CNT: 0
; COMPUTE_PGM_RSRC3_GFX90A:ACCUM_OFFSET: 0
; COMPUTE_PGM_RSRC3_GFX90A:TG_SPLIT: 0
	.section	.text._ZN7rocprim17ROCPRIM_400000_NS6detail17trampoline_kernelINS0_14default_configENS1_21merge_config_selectorIiNS0_10empty_typeEEEZNS1_10merge_implIS3_N6thrust23THRUST_200600_302600_NS6detail15normal_iteratorINS9_10device_ptrIKiEEEESF_NSB_INSC_IiEEEEPS5_SI_SI_NS9_4lessIiEEEE10hipError_tPvRmT0_T1_T2_T3_T4_T5_mmT6_P12ihipStream_tbEUlT_E0_NS1_11comp_targetILNS1_3genE0ELNS1_11target_archE4294967295ELNS1_3gpuE0ELNS1_3repE0EEENS1_30default_config_static_selectorELNS0_4arch9wavefront6targetE1EEEvSP_,"axG",@progbits,_ZN7rocprim17ROCPRIM_400000_NS6detail17trampoline_kernelINS0_14default_configENS1_21merge_config_selectorIiNS0_10empty_typeEEEZNS1_10merge_implIS3_N6thrust23THRUST_200600_302600_NS6detail15normal_iteratorINS9_10device_ptrIKiEEEESF_NSB_INSC_IiEEEEPS5_SI_SI_NS9_4lessIiEEEE10hipError_tPvRmT0_T1_T2_T3_T4_T5_mmT6_P12ihipStream_tbEUlT_E0_NS1_11comp_targetILNS1_3genE0ELNS1_11target_archE4294967295ELNS1_3gpuE0ELNS1_3repE0EEENS1_30default_config_static_selectorELNS0_4arch9wavefront6targetE1EEEvSP_,comdat
	.protected	_ZN7rocprim17ROCPRIM_400000_NS6detail17trampoline_kernelINS0_14default_configENS1_21merge_config_selectorIiNS0_10empty_typeEEEZNS1_10merge_implIS3_N6thrust23THRUST_200600_302600_NS6detail15normal_iteratorINS9_10device_ptrIKiEEEESF_NSB_INSC_IiEEEEPS5_SI_SI_NS9_4lessIiEEEE10hipError_tPvRmT0_T1_T2_T3_T4_T5_mmT6_P12ihipStream_tbEUlT_E0_NS1_11comp_targetILNS1_3genE0ELNS1_11target_archE4294967295ELNS1_3gpuE0ELNS1_3repE0EEENS1_30default_config_static_selectorELNS0_4arch9wavefront6targetE1EEEvSP_ ; -- Begin function _ZN7rocprim17ROCPRIM_400000_NS6detail17trampoline_kernelINS0_14default_configENS1_21merge_config_selectorIiNS0_10empty_typeEEEZNS1_10merge_implIS3_N6thrust23THRUST_200600_302600_NS6detail15normal_iteratorINS9_10device_ptrIKiEEEESF_NSB_INSC_IiEEEEPS5_SI_SI_NS9_4lessIiEEEE10hipError_tPvRmT0_T1_T2_T3_T4_T5_mmT6_P12ihipStream_tbEUlT_E0_NS1_11comp_targetILNS1_3genE0ELNS1_11target_archE4294967295ELNS1_3gpuE0ELNS1_3repE0EEENS1_30default_config_static_selectorELNS0_4arch9wavefront6targetE1EEEvSP_
	.globl	_ZN7rocprim17ROCPRIM_400000_NS6detail17trampoline_kernelINS0_14default_configENS1_21merge_config_selectorIiNS0_10empty_typeEEEZNS1_10merge_implIS3_N6thrust23THRUST_200600_302600_NS6detail15normal_iteratorINS9_10device_ptrIKiEEEESF_NSB_INSC_IiEEEEPS5_SI_SI_NS9_4lessIiEEEE10hipError_tPvRmT0_T1_T2_T3_T4_T5_mmT6_P12ihipStream_tbEUlT_E0_NS1_11comp_targetILNS1_3genE0ELNS1_11target_archE4294967295ELNS1_3gpuE0ELNS1_3repE0EEENS1_30default_config_static_selectorELNS0_4arch9wavefront6targetE1EEEvSP_
	.p2align	8
	.type	_ZN7rocprim17ROCPRIM_400000_NS6detail17trampoline_kernelINS0_14default_configENS1_21merge_config_selectorIiNS0_10empty_typeEEEZNS1_10merge_implIS3_N6thrust23THRUST_200600_302600_NS6detail15normal_iteratorINS9_10device_ptrIKiEEEESF_NSB_INSC_IiEEEEPS5_SI_SI_NS9_4lessIiEEEE10hipError_tPvRmT0_T1_T2_T3_T4_T5_mmT6_P12ihipStream_tbEUlT_E0_NS1_11comp_targetILNS1_3genE0ELNS1_11target_archE4294967295ELNS1_3gpuE0ELNS1_3repE0EEENS1_30default_config_static_selectorELNS0_4arch9wavefront6targetE1EEEvSP_,@function
_ZN7rocprim17ROCPRIM_400000_NS6detail17trampoline_kernelINS0_14default_configENS1_21merge_config_selectorIiNS0_10empty_typeEEEZNS1_10merge_implIS3_N6thrust23THRUST_200600_302600_NS6detail15normal_iteratorINS9_10device_ptrIKiEEEESF_NSB_INSC_IiEEEEPS5_SI_SI_NS9_4lessIiEEEE10hipError_tPvRmT0_T1_T2_T3_T4_T5_mmT6_P12ihipStream_tbEUlT_E0_NS1_11comp_targetILNS1_3genE0ELNS1_11target_archE4294967295ELNS1_3gpuE0ELNS1_3repE0EEENS1_30default_config_static_selectorELNS0_4arch9wavefront6targetE1EEEvSP_: ; @_ZN7rocprim17ROCPRIM_400000_NS6detail17trampoline_kernelINS0_14default_configENS1_21merge_config_selectorIiNS0_10empty_typeEEEZNS1_10merge_implIS3_N6thrust23THRUST_200600_302600_NS6detail15normal_iteratorINS9_10device_ptrIKiEEEESF_NSB_INSC_IiEEEEPS5_SI_SI_NS9_4lessIiEEEE10hipError_tPvRmT0_T1_T2_T3_T4_T5_mmT6_P12ihipStream_tbEUlT_E0_NS1_11comp_targetILNS1_3genE0ELNS1_11target_archE4294967295ELNS1_3gpuE0ELNS1_3repE0EEENS1_30default_config_static_selectorELNS0_4arch9wavefront6targetE1EEEvSP_
; %bb.0:
	s_load_dwordx4 s[4:7], s[0:1], 0x40
	s_load_dwordx8 s[12:19], s[0:1], 0x8
	s_mul_i32 s20, s2, 0xa00
	s_waitcnt lgkmcnt(0)
	s_mov_b32 s5, 0
	s_mov_b32 s7, s5
	s_add_i32 s21, s6, s4
	s_add_i32 s0, s21, 0x9ff
	s_mul_hi_u32 s0, s0, 0xcccccccd
	s_lshr_b32 s0, s0, 11
	s_min_u32 s1, s2, s0
	s_lshl_b32 s1, s1, 2
	s_load_dword s4, s[12:13], s1 offset:0x0
	s_add_i32 s2, s2, 1
	s_min_u32 s0, s2, s0
	s_lshl_b32 s0, s0, 2
	s_load_dword s8, s[12:13], s0 offset:0x0
	s_add_i32 s0, s20, 0xa00
	s_min_u32 s9, s21, s0
	s_waitcnt lgkmcnt(0)
	s_sub_i32 s6, s20, s4
	s_lshl_b64 s[0:1], s[4:5], 2
	s_add_u32 s0, s14, s0
	s_addc_u32 s1, s15, s1
	s_lshl_b64 s[2:3], s[6:7], 2
	s_add_u32 s2, s16, s2
	s_addc_u32 s3, s17, s3
	s_sub_i32 s22, s8, s4
	s_add_i32 s4, s6, s8
	s_sub_i32 s10, s9, s4
	s_add_u32 s4, s10, s22
	s_addc_u32 s5, 0, 0
	v_mov_b32_e32 v1, 0
	v_cmp_le_u32_e32 vcc, s22, v0
	s_and_saveexec_b64 s[6:7], vcc
	s_xor_b64 s[6:7], exec, s[6:7]
	s_cbranch_execz .LBB10_4
; %bb.1:
	v_cmp_gt_u64_e32 vcc, s[4:5], v[0:1]
	s_and_saveexec_b64 s[8:9], vcc
	s_cbranch_execz .LBB10_3
; %bb.2:
	v_subrev_u32_e32 v1, s22, v0
	v_lshlrev_b32_e32 v1, 2, v1
	global_load_dword v1, v1, s[2:3]
	v_lshlrev_b32_e32 v2, 2, v0
	s_waitcnt vmcnt(0)
	ds_write_b32 v2, v1
.LBB10_3:
	s_or_b64 exec, exec, s[8:9]
.LBB10_4:
	s_or_saveexec_b64 s[6:7], s[6:7]
	v_lshlrev_b32_e32 v2, 2, v0
	s_xor_b64 exec, exec, s[6:7]
	s_cbranch_execz .LBB10_6
; %bb.5:
	global_load_dword v1, v2, s[0:1]
	s_waitcnt vmcnt(0)
	ds_write_b32 v2, v1
.LBB10_6:
	s_or_b64 exec, exec, s[6:7]
	v_or_b32_e32 v4, 0x100, v0
	v_mov_b32_e32 v5, 0
	v_cmp_le_u32_e32 vcc, s22, v4
	s_and_saveexec_b64 s[6:7], vcc
	s_xor_b64 s[6:7], exec, s[6:7]
	s_cbranch_execz .LBB10_10
; %bb.7:
	v_cmp_gt_u64_e32 vcc, s[4:5], v[4:5]
	s_and_saveexec_b64 s[8:9], vcc
	s_cbranch_execz .LBB10_9
; %bb.8:
	v_subrev_co_u32_e32 v6, vcc, s22, v0
	s_nop 1
	v_subb_co_u32_e64 v7, s[12:13], 0, 0, vcc
	v_lshl_add_u64 v[6:7], v[6:7], 2, s[2:3]
	global_load_dword v1, v[6:7], off offset:1024
	s_waitcnt vmcnt(0)
	ds_write_b32 v2, v1 offset:1024
.LBB10_9:
	s_or_b64 exec, exec, s[8:9]
.LBB10_10:
	s_andn2_saveexec_b64 s[6:7], s[6:7]
	s_cbranch_execz .LBB10_12
; %bb.11:
	global_load_dword v1, v2, s[0:1] offset:1024
	s_waitcnt vmcnt(0)
	ds_write_b32 v2, v1 offset:1024
.LBB10_12:
	s_or_b64 exec, exec, s[6:7]
	v_or_b32_e32 v6, 0x200, v0
	v_mov_b32_e32 v7, 0
	v_cmp_le_u32_e32 vcc, s22, v6
	s_and_saveexec_b64 s[6:7], vcc
	s_xor_b64 s[6:7], exec, s[6:7]
	s_cbranch_execz .LBB10_16
; %bb.13:
	v_cmp_gt_u64_e32 vcc, s[4:5], v[6:7]
	s_and_saveexec_b64 s[8:9], vcc
	s_cbranch_execz .LBB10_15
; %bb.14:
	v_subrev_co_u32_e32 v8, vcc, s22, v0
	s_nop 1
	v_subb_co_u32_e64 v9, s[12:13], 0, 0, vcc
	v_lshl_add_u64 v[8:9], v[8:9], 2, s[2:3]
	global_load_dword v1, v[8:9], off offset:2048
	s_waitcnt vmcnt(0)
	ds_write_b32 v2, v1 offset:2048
.LBB10_15:
	s_or_b64 exec, exec, s[8:9]
.LBB10_16:
	s_andn2_saveexec_b64 s[6:7], s[6:7]
	s_cbranch_execz .LBB10_18
; %bb.17:
	global_load_dword v1, v2, s[0:1] offset:2048
	s_waitcnt vmcnt(0)
	ds_write_b32 v2, v1 offset:2048
.LBB10_18:
	;; [unrolled: 29-line block ×3, first 2 shown]
	s_or_b64 exec, exec, s[6:7]
	v_or_b32_e32 v10, 0x400, v0
	v_mov_b32_e32 v11, 0
	v_cmp_le_u32_e32 vcc, s22, v10
	s_and_saveexec_b64 s[6:7], vcc
	s_xor_b64 s[6:7], exec, s[6:7]
	s_cbranch_execz .LBB10_28
; %bb.25:
	v_cmp_gt_u64_e32 vcc, s[4:5], v[10:11]
	s_and_saveexec_b64 s[8:9], vcc
	s_cbranch_execz .LBB10_27
; %bb.26:
	v_subrev_u32_e32 v1, s22, v10
	v_lshlrev_b32_e32 v1, 2, v1
	global_load_dword v1, v1, s[2:3]
	s_waitcnt vmcnt(0)
	ds_write_b32 v2, v1 offset:4096
.LBB10_27:
	s_or_b64 exec, exec, s[8:9]
.LBB10_28:
	s_andn2_saveexec_b64 s[6:7], s[6:7]
	s_cbranch_execz .LBB10_30
; %bb.29:
	v_lshlrev_b32_e32 v1, 2, v10
	global_load_dword v1, v1, s[0:1]
	s_waitcnt vmcnt(0)
	ds_write_b32 v2, v1 offset:4096
.LBB10_30:
	s_or_b64 exec, exec, s[6:7]
	v_or_b32_e32 v12, 0x500, v0
	v_mov_b32_e32 v13, 0
	v_cmp_le_u32_e32 vcc, s22, v12
	s_and_saveexec_b64 s[6:7], vcc
	s_xor_b64 s[6:7], exec, s[6:7]
	s_cbranch_execz .LBB10_34
; %bb.31:
	v_cmp_gt_u64_e32 vcc, s[4:5], v[12:13]
	s_and_saveexec_b64 s[8:9], vcc
	s_cbranch_execz .LBB10_33
; %bb.32:
	v_subrev_u32_e32 v1, s22, v12
	v_lshlrev_b32_e32 v1, 2, v1
	global_load_dword v1, v1, s[2:3]
	s_waitcnt vmcnt(0)
	ds_write_b32 v2, v1 offset:5120
.LBB10_33:
	s_or_b64 exec, exec, s[8:9]
.LBB10_34:
	s_andn2_saveexec_b64 s[6:7], s[6:7]
	s_cbranch_execz .LBB10_36
; %bb.35:
	v_lshlrev_b32_e32 v1, 2, v12
	global_load_dword v1, v1, s[0:1]
	s_waitcnt vmcnt(0)
	ds_write_b32 v2, v1 offset:5120
.LBB10_36:
	;; [unrolled: 28-line block ×6, first 2 shown]
	s_or_b64 exec, exec, s[2:3]
	v_mul_u32_u24_e32 v1, 10, v0
	v_sub_u32_e64 v5, v1, s10 clamp
	v_min_u32_e32 v3, s22, v1
	v_cmp_lt_u32_e32 vcc, v5, v3
	s_waitcnt lgkmcnt(0)
	s_barrier
	s_and_saveexec_b64 s[0:1], vcc
	s_cbranch_execz .LBB10_64
; %bb.61:
	v_lshlrev_b32_e32 v7, 2, v1
	v_lshl_add_u32 v7, s22, 2, v7
	s_mov_b64 s[2:3], 0
.LBB10_62:                              ; =>This Inner Loop Header: Depth=1
	v_add_u32_e32 v9, v3, v5
	v_lshrrev_b32_e32 v9, 1, v9
	v_not_b32_e32 v11, v9
	v_lshlrev_b32_e32 v13, 2, v9
	v_lshl_add_u32 v11, v11, 2, v7
	ds_read_b32 v13, v13
	ds_read_b32 v11, v11
	v_add_u32_e32 v15, 1, v9
	s_waitcnt lgkmcnt(0)
	v_cmp_lt_i32_e32 vcc, v11, v13
	s_nop 1
	v_cndmask_b32_e32 v3, v3, v9, vcc
	v_cndmask_b32_e32 v5, v15, v5, vcc
	v_cmp_ge_u32_e32 vcc, v5, v3
	s_or_b64 s[2:3], vcc, s[2:3]
	s_andn2_b64 exec, exec, s[2:3]
	s_cbranch_execnz .LBB10_62
; %bb.63:
	s_or_b64 exec, exec, s[2:3]
.LBB10_64:
	s_or_b64 exec, exec, s[0:1]
	v_add_u32_e32 v1, s22, v1
	s_add_i32 s23, s10, s22
	v_sub_u32_e32 v7, v1, v5
	v_cmp_ge_u32_e32 vcc, s22, v5
	v_cmp_ge_u32_e64 s[0:1], s23, v7
	s_or_b64 s[0:1], vcc, s[0:1]
	v_mov_b32_e32 v29, 0
	v_mov_b32_e32 v28, 0
	;; [unrolled: 1-line block ×10, first 2 shown]
	s_and_saveexec_b64 s[16:17], s[0:1]
	s_cbranch_execz .LBB10_70
; %bb.65:
	v_cmp_gt_u32_e32 vcc, s22, v5
                                        ; implicit-def: $vgpr1
	s_and_saveexec_b64 s[0:1], vcc
; %bb.66:
	v_lshlrev_b32_e32 v1, 2, v5
	ds_read_b32 v1, v1
; %bb.67:
	s_or_b64 exec, exec, s[0:1]
	v_cmp_le_u32_e64 s[0:1], s23, v7
	v_cmp_gt_u32_e64 s[2:3], s23, v7
                                        ; implicit-def: $vgpr3
	s_and_saveexec_b64 s[4:5], s[2:3]
; %bb.68:
	v_lshlrev_b32_e32 v3, 2, v7
	ds_read_b32 v3, v3
; %bb.69:
	s_or_b64 exec, exec, s[4:5]
	s_waitcnt lgkmcnt(0)
	v_cmp_ge_i32_e64 s[2:3], v3, v1
	s_and_b64 s[2:3], vcc, s[2:3]
	s_or_b64 vcc, s[0:1], s[2:3]
	v_mov_b32_e32 v11, s23
	v_mov_b32_e32 v13, s22
	v_cndmask_b32_e32 v9, v7, v5, vcc
	v_cndmask_b32_e32 v15, v11, v13, vcc
	v_add_u32_e32 v9, 1, v9
	v_add_u32_e32 v15, -1, v15
	v_min_u32_e32 v15, v9, v15
	v_lshlrev_b32_e32 v15, 2, v15
	ds_read_b32 v15, v15
	v_cndmask_b32_e32 v5, v5, v9, vcc
	v_cndmask_b32_e32 v7, v9, v7, vcc
	v_cmp_gt_u32_e64 s[2:3], s22, v5
	v_cmp_le_u32_e64 s[0:1], s23, v7
	s_waitcnt lgkmcnt(0)
	v_cndmask_b32_e32 v17, v15, v3, vcc
	v_cndmask_b32_e32 v15, v1, v15, vcc
	v_cmp_ge_i32_e64 s[4:5], v17, v15
	s_and_b64 s[2:3], s[2:3], s[4:5]
	s_or_b64 s[0:1], s[0:1], s[2:3]
	v_cndmask_b32_e64 v9, v7, v5, s[0:1]
	v_cndmask_b32_e64 v19, v11, v13, s[0:1]
	v_add_u32_e32 v9, 1, v9
	v_add_u32_e32 v19, -1, v19
	v_min_u32_e32 v19, v9, v19
	v_lshlrev_b32_e32 v19, 2, v19
	ds_read_b32 v19, v19
	v_cndmask_b32_e64 v5, v5, v9, s[0:1]
	v_cndmask_b32_e64 v7, v9, v7, s[0:1]
	v_cmp_gt_u32_e64 s[4:5], s22, v5
	v_cmp_le_u32_e64 s[2:3], s23, v7
	s_waitcnt lgkmcnt(0)
	v_cndmask_b32_e64 v21, v19, v17, s[0:1]
	v_cndmask_b32_e64 v19, v15, v19, s[0:1]
	v_cmp_ge_i32_e64 s[6:7], v21, v19
	s_and_b64 s[4:5], s[4:5], s[6:7]
	s_or_b64 s[2:3], s[2:3], s[4:5]
	v_cndmask_b32_e64 v9, v7, v5, s[2:3]
	v_cndmask_b32_e64 v22, v11, v13, s[2:3]
	v_add_u32_e32 v9, 1, v9
	v_add_u32_e32 v22, -1, v22
	v_min_u32_e32 v22, v9, v22
	v_lshlrev_b32_e32 v22, 2, v22
	ds_read_b32 v22, v22
	v_cndmask_b32_e64 v5, v5, v9, s[2:3]
	v_cndmask_b32_e64 v7, v9, v7, s[2:3]
	v_cmp_gt_u32_e64 s[6:7], s22, v5
	v_cmp_le_u32_e64 s[4:5], s23, v7
	s_waitcnt lgkmcnt(0)
	v_cndmask_b32_e64 v24, v22, v21, s[2:3]
	v_cndmask_b32_e64 v25, v19, v22, s[2:3]
	;; [unrolled: 17-line block ×5, first 2 shown]
	v_cmp_ge_i32_e64 s[14:15], v32, v33
	s_and_b64 s[12:13], s[12:13], s[14:15]
	s_or_b64 s[10:11], s[10:11], s[12:13]
	v_cndmask_b32_e64 v9, v7, v5, s[10:11]
	v_cndmask_b32_e64 v22, v11, v13, s[10:11]
	v_add_u32_e32 v9, 1, v9
	v_add_u32_e32 v22, -1, v22
	v_min_u32_e32 v22, v9, v22
	v_lshlrev_b32_e32 v22, 2, v22
	ds_read_b32 v23, v22
	v_cndmask_b32_e32 v22, v3, v1, vcc
	v_cndmask_b32_e64 v5, v5, v9, s[10:11]
	v_cndmask_b32_e64 v7, v9, v7, s[10:11]
	v_cmp_gt_u32_e64 s[12:13], s22, v5
	s_waitcnt lgkmcnt(0)
	v_cndmask_b32_e64 v1, v23, v32, s[10:11]
	v_cndmask_b32_e64 v3, v33, v23, s[10:11]
	v_cmp_ge_i32_e64 s[14:15], v1, v3
	v_cmp_le_u32_e32 vcc, s23, v7
	s_and_b64 s[12:13], s[12:13], s[14:15]
	s_or_b64 vcc, vcc, s[12:13]
	v_cndmask_b32_e32 v9, v7, v5, vcc
	v_cndmask_b32_e32 v23, v11, v13, vcc
	v_add_u32_e32 v9, 1, v9
	v_add_u32_e32 v23, -1, v23
	v_min_u32_e32 v23, v9, v23
	v_lshlrev_b32_e32 v23, 2, v23
	ds_read_b32 v34, v23
	v_cndmask_b32_e64 v23, v17, v15, s[0:1]
	v_cndmask_b32_e32 v5, v5, v9, vcc
	v_cndmask_b32_e64 v26, v21, v19, s[2:3]
	v_cndmask_b32_e64 v27, v24, v25, s[4:5]
	s_waitcnt lgkmcnt(0)
	v_cndmask_b32_e32 v15, v34, v1, vcc
	v_cndmask_b32_e32 v17, v3, v34, vcc
	;; [unrolled: 1-line block ×3, first 2 shown]
	v_cmp_gt_u32_e64 s[2:3], s22, v5
	v_cmp_ge_i32_e64 s[4:5], v15, v17
	v_cmp_le_u32_e64 s[0:1], s23, v7
	s_and_b64 s[2:3], s[2:3], s[4:5]
	s_or_b64 s[0:1], s[0:1], s[2:3]
	v_cndmask_b32_e64 v9, v7, v5, s[0:1]
	v_cndmask_b32_e64 v11, v11, v13, s[0:1]
	v_add_u32_e32 v9, 1, v9
	v_add_u32_e32 v11, -1, v11
	v_min_u32_e32 v11, v9, v11
	v_lshlrev_b32_e32 v11, 2, v11
	ds_read_b32 v11, v11
	v_cndmask_b32_e64 v25, v30, v31, s[8:9]
	v_cndmask_b32_e32 v31, v1, v3, vcc
	v_cndmask_b32_e64 v5, v5, v9, s[0:1]
	v_cndmask_b32_e64 v24, v28, v29, s[6:7]
	s_waitcnt lgkmcnt(0)
	v_cndmask_b32_e64 v1, v11, v15, s[0:1]
	v_cndmask_b32_e64 v3, v17, v11, s[0:1]
	;; [unrolled: 1-line block ×4, first 2 shown]
	v_cmp_gt_u32_e64 s[0:1], s22, v5
	v_cmp_ge_i32_e64 s[2:3], v1, v3
	v_cmp_le_u32_e32 vcc, s23, v7
	s_and_b64 s[0:1], s[0:1], s[2:3]
	s_or_b64 vcc, vcc, s[0:1]
	v_cndmask_b32_e64 v30, v32, v33, s[10:11]
	v_cndmask_b32_e32 v29, v1, v3, vcc
.LBB10_70:
	s_or_b64 exec, exec, s[16:17]
	s_sub_i32 s6, s21, s20
	s_mov_b32 s21, 0
	s_lshl_b64 s[0:1], s[20:21], 2
	s_add_u32 s0, s18, s0
	s_addc_u32 s1, s19, s1
	v_mul_u32_u24_e32 v1, 40, v0
	v_mul_i32_i24_e32 v3, 0xffffffdc, v0
	s_cmpk_gt_u32 s6, 0x9ff
	s_barrier
	ds_write2_b64 v1, v[22:23], v[26:27] offset1:1
	ds_write2_b64 v1, v[24:25], v[30:31] offset0:2 offset1:3
	ds_write_b64 v1, v[28:29] offset:32
	v_add_u32_e32 v1, v1, v3
	s_waitcnt lgkmcnt(0)
	s_cbranch_scc0 .LBB10_72
; %bb.71:
	s_barrier
	ds_read2st64_b32 v[22:23], v1 offset1:4
	ds_read2st64_b32 v[24:25], v1 offset0:8 offset1:12
	ds_read2st64_b32 v[26:27], v1 offset0:16 offset1:20
	;; [unrolled: 1-line block ×4, first 2 shown]
	v_mov_b32_e32 v3, 0
	v_lshl_add_u64 v[30:31], s[0:1], 0, v[2:3]
	s_movk_i32 s2, 0x1000
	s_waitcnt lgkmcnt(4)
	global_store_dword v2, v22, s[0:1]
	global_store_dword v2, v23, s[0:1] offset:1024
	s_waitcnt lgkmcnt(3)
	global_store_dword v2, v24, s[0:1] offset:2048
	global_store_dword v2, v25, s[0:1] offset:3072
	v_add_co_u32_e32 v22, vcc, s2, v30
	s_nop 1
	v_addc_co_u32_e32 v23, vcc, 0, v31, vcc
	s_waitcnt lgkmcnt(2)
	global_store_dword v[22:23], v26, off
	global_store_dword v[22:23], v27, off offset:1024
	s_waitcnt lgkmcnt(1)
	global_store_dword v[22:23], v28, off offset:2048
	global_store_dword v[22:23], v29, off offset:3072
	v_add_co_u32_e32 v22, vcc, 0x2000, v30
	s_mov_b64 s[2:3], -1
	s_nop 0
	v_addc_co_u32_e32 v23, vcc, 0, v31, vcc
	s_waitcnt lgkmcnt(0)
	global_store_dword v[22:23], v32, off
	s_cbranch_execz .LBB10_73
	s_branch .LBB10_84
.LBB10_72:
	s_mov_b64 s[2:3], 0
                                        ; implicit-def: $vgpr33
.LBB10_73:
	s_barrier
	ds_read2st64_b32 v[30:31], v1 offset0:4 offset1:8
	ds_read2st64_b32 v[28:29], v1 offset0:12 offset1:16
	;; [unrolled: 1-line block ×4, first 2 shown]
	ds_read_b32 v33, v1 offset:9216
	v_mov_b32_e32 v3, 0
	v_lshl_add_u64 v[24:25], s[0:1], 0, v[2:3]
	v_cmp_gt_u32_e32 vcc, s6, v0
	s_and_saveexec_b64 s[2:3], vcc
	s_cbranch_execnz .LBB10_87
; %bb.74:
	s_or_b64 exec, exec, s[2:3]
	v_cmp_gt_u32_e32 vcc, s6, v4
	s_and_saveexec_b64 s[2:3], vcc
	s_cbranch_execnz .LBB10_88
.LBB10_75:
	s_or_b64 exec, exec, s[2:3]
	v_cmp_gt_u32_e32 vcc, s6, v6
	s_and_saveexec_b64 s[2:3], vcc
	s_cbranch_execnz .LBB10_89
.LBB10_76:
	s_or_b64 exec, exec, s[2:3]
	v_cmp_gt_u32_e32 vcc, s6, v8
	s_and_saveexec_b64 s[2:3], vcc
	s_cbranch_execnz .LBB10_90
.LBB10_77:
	s_or_b64 exec, exec, s[2:3]
	v_cmp_gt_u32_e32 vcc, s6, v10
	s_and_saveexec_b64 s[2:3], vcc
	s_cbranch_execnz .LBB10_91
.LBB10_78:
	s_or_b64 exec, exec, s[2:3]
	v_cmp_gt_u32_e32 vcc, s6, v12
	s_and_saveexec_b64 s[2:3], vcc
	s_cbranch_execnz .LBB10_92
.LBB10_79:
	s_or_b64 exec, exec, s[2:3]
	v_cmp_gt_u32_e32 vcc, s6, v14
	s_and_saveexec_b64 s[2:3], vcc
	s_cbranch_execnz .LBB10_93
.LBB10_80:
	s_or_b64 exec, exec, s[2:3]
	v_cmp_gt_u32_e32 vcc, s6, v16
	s_and_saveexec_b64 s[2:3], vcc
	s_cbranch_execnz .LBB10_94
.LBB10_81:
	s_or_b64 exec, exec, s[2:3]
	v_cmp_gt_u32_e32 vcc, s6, v18
	s_and_saveexec_b64 s[2:3], vcc
	s_cbranch_execz .LBB10_83
.LBB10_82:
	v_add_co_u32_e32 v0, vcc, 0x2000, v24
	s_nop 1
	v_addc_co_u32_e32 v1, vcc, 0, v25, vcc
	s_waitcnt lgkmcnt(1)
	global_store_dword v[0:1], v23, off
.LBB10_83:
	s_or_b64 exec, exec, s[2:3]
	v_cmp_gt_u32_e64 s[2:3], s6, v20
.LBB10_84:
	s_and_saveexec_b64 s[4:5], s[2:3]
	s_cbranch_execnz .LBB10_86
; %bb.85:
	s_endpgm
.LBB10_86:
	v_mov_b32_e32 v3, 0
	v_lshl_add_u64 v[0:1], s[0:1], 0, v[2:3]
	v_add_co_u32_e32 v0, vcc, 0x2000, v0
	s_nop 1
	v_addc_co_u32_e32 v1, vcc, 0, v1, vcc
	s_waitcnt lgkmcnt(0)
	global_store_dword v[0:1], v33, off offset:1024
	s_endpgm
.LBB10_87:
	ds_read_b32 v0, v1
	s_waitcnt lgkmcnt(0)
	global_store_dword v[24:25], v0, off
	s_or_b64 exec, exec, s[2:3]
	v_cmp_gt_u32_e32 vcc, s6, v4
	s_and_saveexec_b64 s[2:3], vcc
	s_cbranch_execz .LBB10_75
.LBB10_88:
	s_waitcnt lgkmcnt(4)
	global_store_dword v[24:25], v30, off offset:1024
	s_or_b64 exec, exec, s[2:3]
	v_cmp_gt_u32_e32 vcc, s6, v6
	s_and_saveexec_b64 s[2:3], vcc
	s_cbranch_execz .LBB10_76
.LBB10_89:
	s_waitcnt lgkmcnt(4)
	global_store_dword v[24:25], v31, off offset:2048
	s_or_b64 exec, exec, s[2:3]
	v_cmp_gt_u32_e32 vcc, s6, v8
	s_and_saveexec_b64 s[2:3], vcc
	s_cbranch_execz .LBB10_77
.LBB10_90:
	s_waitcnt lgkmcnt(3)
	global_store_dword v[24:25], v28, off offset:3072
	s_or_b64 exec, exec, s[2:3]
	v_cmp_gt_u32_e32 vcc, s6, v10
	s_and_saveexec_b64 s[2:3], vcc
	s_cbranch_execz .LBB10_78
.LBB10_91:
	v_add_co_u32_e32 v0, vcc, 0x1000, v24
	s_nop 1
	v_addc_co_u32_e32 v1, vcc, 0, v25, vcc
	s_waitcnt lgkmcnt(3)
	global_store_dword v[0:1], v29, off
	s_or_b64 exec, exec, s[2:3]
	v_cmp_gt_u32_e32 vcc, s6, v12
	s_and_saveexec_b64 s[2:3], vcc
	s_cbranch_execz .LBB10_79
.LBB10_92:
	v_add_co_u32_e32 v0, vcc, 0x1000, v24
	s_nop 1
	v_addc_co_u32_e32 v1, vcc, 0, v25, vcc
	s_waitcnt lgkmcnt(2)
	global_store_dword v[0:1], v26, off offset:1024
	s_or_b64 exec, exec, s[2:3]
	v_cmp_gt_u32_e32 vcc, s6, v14
	s_and_saveexec_b64 s[2:3], vcc
	s_cbranch_execz .LBB10_80
.LBB10_93:
	v_add_co_u32_e32 v0, vcc, 0x1000, v24
	s_nop 1
	v_addc_co_u32_e32 v1, vcc, 0, v25, vcc
	s_waitcnt lgkmcnt(2)
	global_store_dword v[0:1], v27, off offset:2048
	s_or_b64 exec, exec, s[2:3]
	v_cmp_gt_u32_e32 vcc, s6, v16
	s_and_saveexec_b64 s[2:3], vcc
	s_cbranch_execz .LBB10_81
.LBB10_94:
	v_add_co_u32_e32 v0, vcc, 0x1000, v24
	s_nop 1
	v_addc_co_u32_e32 v1, vcc, 0, v25, vcc
	s_waitcnt lgkmcnt(1)
	global_store_dword v[0:1], v22, off offset:3072
	s_or_b64 exec, exec, s[2:3]
	v_cmp_gt_u32_e32 vcc, s6, v18
	s_and_saveexec_b64 s[2:3], vcc
	s_cbranch_execnz .LBB10_82
	s_branch .LBB10_83
	.section	.rodata,"a",@progbits
	.p2align	6, 0x0
	.amdhsa_kernel _ZN7rocprim17ROCPRIM_400000_NS6detail17trampoline_kernelINS0_14default_configENS1_21merge_config_selectorIiNS0_10empty_typeEEEZNS1_10merge_implIS3_N6thrust23THRUST_200600_302600_NS6detail15normal_iteratorINS9_10device_ptrIKiEEEESF_NSB_INSC_IiEEEEPS5_SI_SI_NS9_4lessIiEEEE10hipError_tPvRmT0_T1_T2_T3_T4_T5_mmT6_P12ihipStream_tbEUlT_E0_NS1_11comp_targetILNS1_3genE0ELNS1_11target_archE4294967295ELNS1_3gpuE0ELNS1_3repE0EEENS1_30default_config_static_selectorELNS0_4arch9wavefront6targetE1EEEvSP_
		.amdhsa_group_segment_fixed_size 10256
		.amdhsa_private_segment_fixed_size 0
		.amdhsa_kernarg_size 88
		.amdhsa_user_sgpr_count 2
		.amdhsa_user_sgpr_dispatch_ptr 0
		.amdhsa_user_sgpr_queue_ptr 0
		.amdhsa_user_sgpr_kernarg_segment_ptr 1
		.amdhsa_user_sgpr_dispatch_id 0
		.amdhsa_user_sgpr_kernarg_preload_length 0
		.amdhsa_user_sgpr_kernarg_preload_offset 0
		.amdhsa_user_sgpr_private_segment_size 0
		.amdhsa_uses_dynamic_stack 0
		.amdhsa_enable_private_segment 0
		.amdhsa_system_sgpr_workgroup_id_x 1
		.amdhsa_system_sgpr_workgroup_id_y 0
		.amdhsa_system_sgpr_workgroup_id_z 0
		.amdhsa_system_sgpr_workgroup_info 0
		.amdhsa_system_vgpr_workitem_id 0
		.amdhsa_next_free_vgpr 35
		.amdhsa_next_free_sgpr 24
		.amdhsa_accum_offset 36
		.amdhsa_reserve_vcc 1
		.amdhsa_float_round_mode_32 0
		.amdhsa_float_round_mode_16_64 0
		.amdhsa_float_denorm_mode_32 3
		.amdhsa_float_denorm_mode_16_64 3
		.amdhsa_dx10_clamp 1
		.amdhsa_ieee_mode 1
		.amdhsa_fp16_overflow 0
		.amdhsa_tg_split 0
		.amdhsa_exception_fp_ieee_invalid_op 0
		.amdhsa_exception_fp_denorm_src 0
		.amdhsa_exception_fp_ieee_div_zero 0
		.amdhsa_exception_fp_ieee_overflow 0
		.amdhsa_exception_fp_ieee_underflow 0
		.amdhsa_exception_fp_ieee_inexact 0
		.amdhsa_exception_int_div_zero 0
	.end_amdhsa_kernel
	.section	.text._ZN7rocprim17ROCPRIM_400000_NS6detail17trampoline_kernelINS0_14default_configENS1_21merge_config_selectorIiNS0_10empty_typeEEEZNS1_10merge_implIS3_N6thrust23THRUST_200600_302600_NS6detail15normal_iteratorINS9_10device_ptrIKiEEEESF_NSB_INSC_IiEEEEPS5_SI_SI_NS9_4lessIiEEEE10hipError_tPvRmT0_T1_T2_T3_T4_T5_mmT6_P12ihipStream_tbEUlT_E0_NS1_11comp_targetILNS1_3genE0ELNS1_11target_archE4294967295ELNS1_3gpuE0ELNS1_3repE0EEENS1_30default_config_static_selectorELNS0_4arch9wavefront6targetE1EEEvSP_,"axG",@progbits,_ZN7rocprim17ROCPRIM_400000_NS6detail17trampoline_kernelINS0_14default_configENS1_21merge_config_selectorIiNS0_10empty_typeEEEZNS1_10merge_implIS3_N6thrust23THRUST_200600_302600_NS6detail15normal_iteratorINS9_10device_ptrIKiEEEESF_NSB_INSC_IiEEEEPS5_SI_SI_NS9_4lessIiEEEE10hipError_tPvRmT0_T1_T2_T3_T4_T5_mmT6_P12ihipStream_tbEUlT_E0_NS1_11comp_targetILNS1_3genE0ELNS1_11target_archE4294967295ELNS1_3gpuE0ELNS1_3repE0EEENS1_30default_config_static_selectorELNS0_4arch9wavefront6targetE1EEEvSP_,comdat
.Lfunc_end10:
	.size	_ZN7rocprim17ROCPRIM_400000_NS6detail17trampoline_kernelINS0_14default_configENS1_21merge_config_selectorIiNS0_10empty_typeEEEZNS1_10merge_implIS3_N6thrust23THRUST_200600_302600_NS6detail15normal_iteratorINS9_10device_ptrIKiEEEESF_NSB_INSC_IiEEEEPS5_SI_SI_NS9_4lessIiEEEE10hipError_tPvRmT0_T1_T2_T3_T4_T5_mmT6_P12ihipStream_tbEUlT_E0_NS1_11comp_targetILNS1_3genE0ELNS1_11target_archE4294967295ELNS1_3gpuE0ELNS1_3repE0EEENS1_30default_config_static_selectorELNS0_4arch9wavefront6targetE1EEEvSP_, .Lfunc_end10-_ZN7rocprim17ROCPRIM_400000_NS6detail17trampoline_kernelINS0_14default_configENS1_21merge_config_selectorIiNS0_10empty_typeEEEZNS1_10merge_implIS3_N6thrust23THRUST_200600_302600_NS6detail15normal_iteratorINS9_10device_ptrIKiEEEESF_NSB_INSC_IiEEEEPS5_SI_SI_NS9_4lessIiEEEE10hipError_tPvRmT0_T1_T2_T3_T4_T5_mmT6_P12ihipStream_tbEUlT_E0_NS1_11comp_targetILNS1_3genE0ELNS1_11target_archE4294967295ELNS1_3gpuE0ELNS1_3repE0EEENS1_30default_config_static_selectorELNS0_4arch9wavefront6targetE1EEEvSP_
                                        ; -- End function
	.set _ZN7rocprim17ROCPRIM_400000_NS6detail17trampoline_kernelINS0_14default_configENS1_21merge_config_selectorIiNS0_10empty_typeEEEZNS1_10merge_implIS3_N6thrust23THRUST_200600_302600_NS6detail15normal_iteratorINS9_10device_ptrIKiEEEESF_NSB_INSC_IiEEEEPS5_SI_SI_NS9_4lessIiEEEE10hipError_tPvRmT0_T1_T2_T3_T4_T5_mmT6_P12ihipStream_tbEUlT_E0_NS1_11comp_targetILNS1_3genE0ELNS1_11target_archE4294967295ELNS1_3gpuE0ELNS1_3repE0EEENS1_30default_config_static_selectorELNS0_4arch9wavefront6targetE1EEEvSP_.num_vgpr, 35
	.set _ZN7rocprim17ROCPRIM_400000_NS6detail17trampoline_kernelINS0_14default_configENS1_21merge_config_selectorIiNS0_10empty_typeEEEZNS1_10merge_implIS3_N6thrust23THRUST_200600_302600_NS6detail15normal_iteratorINS9_10device_ptrIKiEEEESF_NSB_INSC_IiEEEEPS5_SI_SI_NS9_4lessIiEEEE10hipError_tPvRmT0_T1_T2_T3_T4_T5_mmT6_P12ihipStream_tbEUlT_E0_NS1_11comp_targetILNS1_3genE0ELNS1_11target_archE4294967295ELNS1_3gpuE0ELNS1_3repE0EEENS1_30default_config_static_selectorELNS0_4arch9wavefront6targetE1EEEvSP_.num_agpr, 0
	.set _ZN7rocprim17ROCPRIM_400000_NS6detail17trampoline_kernelINS0_14default_configENS1_21merge_config_selectorIiNS0_10empty_typeEEEZNS1_10merge_implIS3_N6thrust23THRUST_200600_302600_NS6detail15normal_iteratorINS9_10device_ptrIKiEEEESF_NSB_INSC_IiEEEEPS5_SI_SI_NS9_4lessIiEEEE10hipError_tPvRmT0_T1_T2_T3_T4_T5_mmT6_P12ihipStream_tbEUlT_E0_NS1_11comp_targetILNS1_3genE0ELNS1_11target_archE4294967295ELNS1_3gpuE0ELNS1_3repE0EEENS1_30default_config_static_selectorELNS0_4arch9wavefront6targetE1EEEvSP_.numbered_sgpr, 24
	.set _ZN7rocprim17ROCPRIM_400000_NS6detail17trampoline_kernelINS0_14default_configENS1_21merge_config_selectorIiNS0_10empty_typeEEEZNS1_10merge_implIS3_N6thrust23THRUST_200600_302600_NS6detail15normal_iteratorINS9_10device_ptrIKiEEEESF_NSB_INSC_IiEEEEPS5_SI_SI_NS9_4lessIiEEEE10hipError_tPvRmT0_T1_T2_T3_T4_T5_mmT6_P12ihipStream_tbEUlT_E0_NS1_11comp_targetILNS1_3genE0ELNS1_11target_archE4294967295ELNS1_3gpuE0ELNS1_3repE0EEENS1_30default_config_static_selectorELNS0_4arch9wavefront6targetE1EEEvSP_.num_named_barrier, 0
	.set _ZN7rocprim17ROCPRIM_400000_NS6detail17trampoline_kernelINS0_14default_configENS1_21merge_config_selectorIiNS0_10empty_typeEEEZNS1_10merge_implIS3_N6thrust23THRUST_200600_302600_NS6detail15normal_iteratorINS9_10device_ptrIKiEEEESF_NSB_INSC_IiEEEEPS5_SI_SI_NS9_4lessIiEEEE10hipError_tPvRmT0_T1_T2_T3_T4_T5_mmT6_P12ihipStream_tbEUlT_E0_NS1_11comp_targetILNS1_3genE0ELNS1_11target_archE4294967295ELNS1_3gpuE0ELNS1_3repE0EEENS1_30default_config_static_selectorELNS0_4arch9wavefront6targetE1EEEvSP_.private_seg_size, 0
	.set _ZN7rocprim17ROCPRIM_400000_NS6detail17trampoline_kernelINS0_14default_configENS1_21merge_config_selectorIiNS0_10empty_typeEEEZNS1_10merge_implIS3_N6thrust23THRUST_200600_302600_NS6detail15normal_iteratorINS9_10device_ptrIKiEEEESF_NSB_INSC_IiEEEEPS5_SI_SI_NS9_4lessIiEEEE10hipError_tPvRmT0_T1_T2_T3_T4_T5_mmT6_P12ihipStream_tbEUlT_E0_NS1_11comp_targetILNS1_3genE0ELNS1_11target_archE4294967295ELNS1_3gpuE0ELNS1_3repE0EEENS1_30default_config_static_selectorELNS0_4arch9wavefront6targetE1EEEvSP_.uses_vcc, 1
	.set _ZN7rocprim17ROCPRIM_400000_NS6detail17trampoline_kernelINS0_14default_configENS1_21merge_config_selectorIiNS0_10empty_typeEEEZNS1_10merge_implIS3_N6thrust23THRUST_200600_302600_NS6detail15normal_iteratorINS9_10device_ptrIKiEEEESF_NSB_INSC_IiEEEEPS5_SI_SI_NS9_4lessIiEEEE10hipError_tPvRmT0_T1_T2_T3_T4_T5_mmT6_P12ihipStream_tbEUlT_E0_NS1_11comp_targetILNS1_3genE0ELNS1_11target_archE4294967295ELNS1_3gpuE0ELNS1_3repE0EEENS1_30default_config_static_selectorELNS0_4arch9wavefront6targetE1EEEvSP_.uses_flat_scratch, 0
	.set _ZN7rocprim17ROCPRIM_400000_NS6detail17trampoline_kernelINS0_14default_configENS1_21merge_config_selectorIiNS0_10empty_typeEEEZNS1_10merge_implIS3_N6thrust23THRUST_200600_302600_NS6detail15normal_iteratorINS9_10device_ptrIKiEEEESF_NSB_INSC_IiEEEEPS5_SI_SI_NS9_4lessIiEEEE10hipError_tPvRmT0_T1_T2_T3_T4_T5_mmT6_P12ihipStream_tbEUlT_E0_NS1_11comp_targetILNS1_3genE0ELNS1_11target_archE4294967295ELNS1_3gpuE0ELNS1_3repE0EEENS1_30default_config_static_selectorELNS0_4arch9wavefront6targetE1EEEvSP_.has_dyn_sized_stack, 0
	.set _ZN7rocprim17ROCPRIM_400000_NS6detail17trampoline_kernelINS0_14default_configENS1_21merge_config_selectorIiNS0_10empty_typeEEEZNS1_10merge_implIS3_N6thrust23THRUST_200600_302600_NS6detail15normal_iteratorINS9_10device_ptrIKiEEEESF_NSB_INSC_IiEEEEPS5_SI_SI_NS9_4lessIiEEEE10hipError_tPvRmT0_T1_T2_T3_T4_T5_mmT6_P12ihipStream_tbEUlT_E0_NS1_11comp_targetILNS1_3genE0ELNS1_11target_archE4294967295ELNS1_3gpuE0ELNS1_3repE0EEENS1_30default_config_static_selectorELNS0_4arch9wavefront6targetE1EEEvSP_.has_recursion, 0
	.set _ZN7rocprim17ROCPRIM_400000_NS6detail17trampoline_kernelINS0_14default_configENS1_21merge_config_selectorIiNS0_10empty_typeEEEZNS1_10merge_implIS3_N6thrust23THRUST_200600_302600_NS6detail15normal_iteratorINS9_10device_ptrIKiEEEESF_NSB_INSC_IiEEEEPS5_SI_SI_NS9_4lessIiEEEE10hipError_tPvRmT0_T1_T2_T3_T4_T5_mmT6_P12ihipStream_tbEUlT_E0_NS1_11comp_targetILNS1_3genE0ELNS1_11target_archE4294967295ELNS1_3gpuE0ELNS1_3repE0EEENS1_30default_config_static_selectorELNS0_4arch9wavefront6targetE1EEEvSP_.has_indirect_call, 0
	.section	.AMDGPU.csdata,"",@progbits
; Kernel info:
; codeLenInByte = 3432
; TotalNumSgprs: 30
; NumVgprs: 35
; NumAgprs: 0
; TotalNumVgprs: 35
; ScratchSize: 0
; MemoryBound: 0
; FloatMode: 240
; IeeeMode: 1
; LDSByteSize: 10256 bytes/workgroup (compile time only)
; SGPRBlocks: 3
; VGPRBlocks: 4
; NumSGPRsForWavesPerEU: 30
; NumVGPRsForWavesPerEU: 35
; AccumOffset: 36
; Occupancy: 8
; WaveLimiterHint : 1
; COMPUTE_PGM_RSRC2:SCRATCH_EN: 0
; COMPUTE_PGM_RSRC2:USER_SGPR: 2
; COMPUTE_PGM_RSRC2:TRAP_HANDLER: 0
; COMPUTE_PGM_RSRC2:TGID_X_EN: 1
; COMPUTE_PGM_RSRC2:TGID_Y_EN: 0
; COMPUTE_PGM_RSRC2:TGID_Z_EN: 0
; COMPUTE_PGM_RSRC2:TIDIG_COMP_CNT: 0
; COMPUTE_PGM_RSRC3_GFX90A:ACCUM_OFFSET: 8
; COMPUTE_PGM_RSRC3_GFX90A:TG_SPLIT: 0
	.section	.text._ZN7rocprim17ROCPRIM_400000_NS6detail17trampoline_kernelINS0_14default_configENS1_21merge_config_selectorIiNS0_10empty_typeEEEZNS1_10merge_implIS3_N6thrust23THRUST_200600_302600_NS6detail15normal_iteratorINS9_10device_ptrIKiEEEESF_NSB_INSC_IiEEEEPS5_SI_SI_NS9_4lessIiEEEE10hipError_tPvRmT0_T1_T2_T3_T4_T5_mmT6_P12ihipStream_tbEUlT_E0_NS1_11comp_targetILNS1_3genE5ELNS1_11target_archE942ELNS1_3gpuE9ELNS1_3repE0EEENS1_30default_config_static_selectorELNS0_4arch9wavefront6targetE1EEEvSP_,"axG",@progbits,_ZN7rocprim17ROCPRIM_400000_NS6detail17trampoline_kernelINS0_14default_configENS1_21merge_config_selectorIiNS0_10empty_typeEEEZNS1_10merge_implIS3_N6thrust23THRUST_200600_302600_NS6detail15normal_iteratorINS9_10device_ptrIKiEEEESF_NSB_INSC_IiEEEEPS5_SI_SI_NS9_4lessIiEEEE10hipError_tPvRmT0_T1_T2_T3_T4_T5_mmT6_P12ihipStream_tbEUlT_E0_NS1_11comp_targetILNS1_3genE5ELNS1_11target_archE942ELNS1_3gpuE9ELNS1_3repE0EEENS1_30default_config_static_selectorELNS0_4arch9wavefront6targetE1EEEvSP_,comdat
	.protected	_ZN7rocprim17ROCPRIM_400000_NS6detail17trampoline_kernelINS0_14default_configENS1_21merge_config_selectorIiNS0_10empty_typeEEEZNS1_10merge_implIS3_N6thrust23THRUST_200600_302600_NS6detail15normal_iteratorINS9_10device_ptrIKiEEEESF_NSB_INSC_IiEEEEPS5_SI_SI_NS9_4lessIiEEEE10hipError_tPvRmT0_T1_T2_T3_T4_T5_mmT6_P12ihipStream_tbEUlT_E0_NS1_11comp_targetILNS1_3genE5ELNS1_11target_archE942ELNS1_3gpuE9ELNS1_3repE0EEENS1_30default_config_static_selectorELNS0_4arch9wavefront6targetE1EEEvSP_ ; -- Begin function _ZN7rocprim17ROCPRIM_400000_NS6detail17trampoline_kernelINS0_14default_configENS1_21merge_config_selectorIiNS0_10empty_typeEEEZNS1_10merge_implIS3_N6thrust23THRUST_200600_302600_NS6detail15normal_iteratorINS9_10device_ptrIKiEEEESF_NSB_INSC_IiEEEEPS5_SI_SI_NS9_4lessIiEEEE10hipError_tPvRmT0_T1_T2_T3_T4_T5_mmT6_P12ihipStream_tbEUlT_E0_NS1_11comp_targetILNS1_3genE5ELNS1_11target_archE942ELNS1_3gpuE9ELNS1_3repE0EEENS1_30default_config_static_selectorELNS0_4arch9wavefront6targetE1EEEvSP_
	.globl	_ZN7rocprim17ROCPRIM_400000_NS6detail17trampoline_kernelINS0_14default_configENS1_21merge_config_selectorIiNS0_10empty_typeEEEZNS1_10merge_implIS3_N6thrust23THRUST_200600_302600_NS6detail15normal_iteratorINS9_10device_ptrIKiEEEESF_NSB_INSC_IiEEEEPS5_SI_SI_NS9_4lessIiEEEE10hipError_tPvRmT0_T1_T2_T3_T4_T5_mmT6_P12ihipStream_tbEUlT_E0_NS1_11comp_targetILNS1_3genE5ELNS1_11target_archE942ELNS1_3gpuE9ELNS1_3repE0EEENS1_30default_config_static_selectorELNS0_4arch9wavefront6targetE1EEEvSP_
	.p2align	8
	.type	_ZN7rocprim17ROCPRIM_400000_NS6detail17trampoline_kernelINS0_14default_configENS1_21merge_config_selectorIiNS0_10empty_typeEEEZNS1_10merge_implIS3_N6thrust23THRUST_200600_302600_NS6detail15normal_iteratorINS9_10device_ptrIKiEEEESF_NSB_INSC_IiEEEEPS5_SI_SI_NS9_4lessIiEEEE10hipError_tPvRmT0_T1_T2_T3_T4_T5_mmT6_P12ihipStream_tbEUlT_E0_NS1_11comp_targetILNS1_3genE5ELNS1_11target_archE942ELNS1_3gpuE9ELNS1_3repE0EEENS1_30default_config_static_selectorELNS0_4arch9wavefront6targetE1EEEvSP_,@function
_ZN7rocprim17ROCPRIM_400000_NS6detail17trampoline_kernelINS0_14default_configENS1_21merge_config_selectorIiNS0_10empty_typeEEEZNS1_10merge_implIS3_N6thrust23THRUST_200600_302600_NS6detail15normal_iteratorINS9_10device_ptrIKiEEEESF_NSB_INSC_IiEEEEPS5_SI_SI_NS9_4lessIiEEEE10hipError_tPvRmT0_T1_T2_T3_T4_T5_mmT6_P12ihipStream_tbEUlT_E0_NS1_11comp_targetILNS1_3genE5ELNS1_11target_archE942ELNS1_3gpuE9ELNS1_3repE0EEENS1_30default_config_static_selectorELNS0_4arch9wavefront6targetE1EEEvSP_: ; @_ZN7rocprim17ROCPRIM_400000_NS6detail17trampoline_kernelINS0_14default_configENS1_21merge_config_selectorIiNS0_10empty_typeEEEZNS1_10merge_implIS3_N6thrust23THRUST_200600_302600_NS6detail15normal_iteratorINS9_10device_ptrIKiEEEESF_NSB_INSC_IiEEEEPS5_SI_SI_NS9_4lessIiEEEE10hipError_tPvRmT0_T1_T2_T3_T4_T5_mmT6_P12ihipStream_tbEUlT_E0_NS1_11comp_targetILNS1_3genE5ELNS1_11target_archE942ELNS1_3gpuE9ELNS1_3repE0EEENS1_30default_config_static_selectorELNS0_4arch9wavefront6targetE1EEEvSP_
; %bb.0:
	.section	.rodata,"a",@progbits
	.p2align	6, 0x0
	.amdhsa_kernel _ZN7rocprim17ROCPRIM_400000_NS6detail17trampoline_kernelINS0_14default_configENS1_21merge_config_selectorIiNS0_10empty_typeEEEZNS1_10merge_implIS3_N6thrust23THRUST_200600_302600_NS6detail15normal_iteratorINS9_10device_ptrIKiEEEESF_NSB_INSC_IiEEEEPS5_SI_SI_NS9_4lessIiEEEE10hipError_tPvRmT0_T1_T2_T3_T4_T5_mmT6_P12ihipStream_tbEUlT_E0_NS1_11comp_targetILNS1_3genE5ELNS1_11target_archE942ELNS1_3gpuE9ELNS1_3repE0EEENS1_30default_config_static_selectorELNS0_4arch9wavefront6targetE1EEEvSP_
		.amdhsa_group_segment_fixed_size 0
		.amdhsa_private_segment_fixed_size 0
		.amdhsa_kernarg_size 88
		.amdhsa_user_sgpr_count 2
		.amdhsa_user_sgpr_dispatch_ptr 0
		.amdhsa_user_sgpr_queue_ptr 0
		.amdhsa_user_sgpr_kernarg_segment_ptr 1
		.amdhsa_user_sgpr_dispatch_id 0
		.amdhsa_user_sgpr_kernarg_preload_length 0
		.amdhsa_user_sgpr_kernarg_preload_offset 0
		.amdhsa_user_sgpr_private_segment_size 0
		.amdhsa_uses_dynamic_stack 0
		.amdhsa_enable_private_segment 0
		.amdhsa_system_sgpr_workgroup_id_x 1
		.amdhsa_system_sgpr_workgroup_id_y 0
		.amdhsa_system_sgpr_workgroup_id_z 0
		.amdhsa_system_sgpr_workgroup_info 0
		.amdhsa_system_vgpr_workitem_id 0
		.amdhsa_next_free_vgpr 1
		.amdhsa_next_free_sgpr 0
		.amdhsa_accum_offset 4
		.amdhsa_reserve_vcc 0
		.amdhsa_float_round_mode_32 0
		.amdhsa_float_round_mode_16_64 0
		.amdhsa_float_denorm_mode_32 3
		.amdhsa_float_denorm_mode_16_64 3
		.amdhsa_dx10_clamp 1
		.amdhsa_ieee_mode 1
		.amdhsa_fp16_overflow 0
		.amdhsa_tg_split 0
		.amdhsa_exception_fp_ieee_invalid_op 0
		.amdhsa_exception_fp_denorm_src 0
		.amdhsa_exception_fp_ieee_div_zero 0
		.amdhsa_exception_fp_ieee_overflow 0
		.amdhsa_exception_fp_ieee_underflow 0
		.amdhsa_exception_fp_ieee_inexact 0
		.amdhsa_exception_int_div_zero 0
	.end_amdhsa_kernel
	.section	.text._ZN7rocprim17ROCPRIM_400000_NS6detail17trampoline_kernelINS0_14default_configENS1_21merge_config_selectorIiNS0_10empty_typeEEEZNS1_10merge_implIS3_N6thrust23THRUST_200600_302600_NS6detail15normal_iteratorINS9_10device_ptrIKiEEEESF_NSB_INSC_IiEEEEPS5_SI_SI_NS9_4lessIiEEEE10hipError_tPvRmT0_T1_T2_T3_T4_T5_mmT6_P12ihipStream_tbEUlT_E0_NS1_11comp_targetILNS1_3genE5ELNS1_11target_archE942ELNS1_3gpuE9ELNS1_3repE0EEENS1_30default_config_static_selectorELNS0_4arch9wavefront6targetE1EEEvSP_,"axG",@progbits,_ZN7rocprim17ROCPRIM_400000_NS6detail17trampoline_kernelINS0_14default_configENS1_21merge_config_selectorIiNS0_10empty_typeEEEZNS1_10merge_implIS3_N6thrust23THRUST_200600_302600_NS6detail15normal_iteratorINS9_10device_ptrIKiEEEESF_NSB_INSC_IiEEEEPS5_SI_SI_NS9_4lessIiEEEE10hipError_tPvRmT0_T1_T2_T3_T4_T5_mmT6_P12ihipStream_tbEUlT_E0_NS1_11comp_targetILNS1_3genE5ELNS1_11target_archE942ELNS1_3gpuE9ELNS1_3repE0EEENS1_30default_config_static_selectorELNS0_4arch9wavefront6targetE1EEEvSP_,comdat
.Lfunc_end11:
	.size	_ZN7rocprim17ROCPRIM_400000_NS6detail17trampoline_kernelINS0_14default_configENS1_21merge_config_selectorIiNS0_10empty_typeEEEZNS1_10merge_implIS3_N6thrust23THRUST_200600_302600_NS6detail15normal_iteratorINS9_10device_ptrIKiEEEESF_NSB_INSC_IiEEEEPS5_SI_SI_NS9_4lessIiEEEE10hipError_tPvRmT0_T1_T2_T3_T4_T5_mmT6_P12ihipStream_tbEUlT_E0_NS1_11comp_targetILNS1_3genE5ELNS1_11target_archE942ELNS1_3gpuE9ELNS1_3repE0EEENS1_30default_config_static_selectorELNS0_4arch9wavefront6targetE1EEEvSP_, .Lfunc_end11-_ZN7rocprim17ROCPRIM_400000_NS6detail17trampoline_kernelINS0_14default_configENS1_21merge_config_selectorIiNS0_10empty_typeEEEZNS1_10merge_implIS3_N6thrust23THRUST_200600_302600_NS6detail15normal_iteratorINS9_10device_ptrIKiEEEESF_NSB_INSC_IiEEEEPS5_SI_SI_NS9_4lessIiEEEE10hipError_tPvRmT0_T1_T2_T3_T4_T5_mmT6_P12ihipStream_tbEUlT_E0_NS1_11comp_targetILNS1_3genE5ELNS1_11target_archE942ELNS1_3gpuE9ELNS1_3repE0EEENS1_30default_config_static_selectorELNS0_4arch9wavefront6targetE1EEEvSP_
                                        ; -- End function
	.set _ZN7rocprim17ROCPRIM_400000_NS6detail17trampoline_kernelINS0_14default_configENS1_21merge_config_selectorIiNS0_10empty_typeEEEZNS1_10merge_implIS3_N6thrust23THRUST_200600_302600_NS6detail15normal_iteratorINS9_10device_ptrIKiEEEESF_NSB_INSC_IiEEEEPS5_SI_SI_NS9_4lessIiEEEE10hipError_tPvRmT0_T1_T2_T3_T4_T5_mmT6_P12ihipStream_tbEUlT_E0_NS1_11comp_targetILNS1_3genE5ELNS1_11target_archE942ELNS1_3gpuE9ELNS1_3repE0EEENS1_30default_config_static_selectorELNS0_4arch9wavefront6targetE1EEEvSP_.num_vgpr, 0
	.set _ZN7rocprim17ROCPRIM_400000_NS6detail17trampoline_kernelINS0_14default_configENS1_21merge_config_selectorIiNS0_10empty_typeEEEZNS1_10merge_implIS3_N6thrust23THRUST_200600_302600_NS6detail15normal_iteratorINS9_10device_ptrIKiEEEESF_NSB_INSC_IiEEEEPS5_SI_SI_NS9_4lessIiEEEE10hipError_tPvRmT0_T1_T2_T3_T4_T5_mmT6_P12ihipStream_tbEUlT_E0_NS1_11comp_targetILNS1_3genE5ELNS1_11target_archE942ELNS1_3gpuE9ELNS1_3repE0EEENS1_30default_config_static_selectorELNS0_4arch9wavefront6targetE1EEEvSP_.num_agpr, 0
	.set _ZN7rocprim17ROCPRIM_400000_NS6detail17trampoline_kernelINS0_14default_configENS1_21merge_config_selectorIiNS0_10empty_typeEEEZNS1_10merge_implIS3_N6thrust23THRUST_200600_302600_NS6detail15normal_iteratorINS9_10device_ptrIKiEEEESF_NSB_INSC_IiEEEEPS5_SI_SI_NS9_4lessIiEEEE10hipError_tPvRmT0_T1_T2_T3_T4_T5_mmT6_P12ihipStream_tbEUlT_E0_NS1_11comp_targetILNS1_3genE5ELNS1_11target_archE942ELNS1_3gpuE9ELNS1_3repE0EEENS1_30default_config_static_selectorELNS0_4arch9wavefront6targetE1EEEvSP_.numbered_sgpr, 0
	.set _ZN7rocprim17ROCPRIM_400000_NS6detail17trampoline_kernelINS0_14default_configENS1_21merge_config_selectorIiNS0_10empty_typeEEEZNS1_10merge_implIS3_N6thrust23THRUST_200600_302600_NS6detail15normal_iteratorINS9_10device_ptrIKiEEEESF_NSB_INSC_IiEEEEPS5_SI_SI_NS9_4lessIiEEEE10hipError_tPvRmT0_T1_T2_T3_T4_T5_mmT6_P12ihipStream_tbEUlT_E0_NS1_11comp_targetILNS1_3genE5ELNS1_11target_archE942ELNS1_3gpuE9ELNS1_3repE0EEENS1_30default_config_static_selectorELNS0_4arch9wavefront6targetE1EEEvSP_.num_named_barrier, 0
	.set _ZN7rocprim17ROCPRIM_400000_NS6detail17trampoline_kernelINS0_14default_configENS1_21merge_config_selectorIiNS0_10empty_typeEEEZNS1_10merge_implIS3_N6thrust23THRUST_200600_302600_NS6detail15normal_iteratorINS9_10device_ptrIKiEEEESF_NSB_INSC_IiEEEEPS5_SI_SI_NS9_4lessIiEEEE10hipError_tPvRmT0_T1_T2_T3_T4_T5_mmT6_P12ihipStream_tbEUlT_E0_NS1_11comp_targetILNS1_3genE5ELNS1_11target_archE942ELNS1_3gpuE9ELNS1_3repE0EEENS1_30default_config_static_selectorELNS0_4arch9wavefront6targetE1EEEvSP_.private_seg_size, 0
	.set _ZN7rocprim17ROCPRIM_400000_NS6detail17trampoline_kernelINS0_14default_configENS1_21merge_config_selectorIiNS0_10empty_typeEEEZNS1_10merge_implIS3_N6thrust23THRUST_200600_302600_NS6detail15normal_iteratorINS9_10device_ptrIKiEEEESF_NSB_INSC_IiEEEEPS5_SI_SI_NS9_4lessIiEEEE10hipError_tPvRmT0_T1_T2_T3_T4_T5_mmT6_P12ihipStream_tbEUlT_E0_NS1_11comp_targetILNS1_3genE5ELNS1_11target_archE942ELNS1_3gpuE9ELNS1_3repE0EEENS1_30default_config_static_selectorELNS0_4arch9wavefront6targetE1EEEvSP_.uses_vcc, 0
	.set _ZN7rocprim17ROCPRIM_400000_NS6detail17trampoline_kernelINS0_14default_configENS1_21merge_config_selectorIiNS0_10empty_typeEEEZNS1_10merge_implIS3_N6thrust23THRUST_200600_302600_NS6detail15normal_iteratorINS9_10device_ptrIKiEEEESF_NSB_INSC_IiEEEEPS5_SI_SI_NS9_4lessIiEEEE10hipError_tPvRmT0_T1_T2_T3_T4_T5_mmT6_P12ihipStream_tbEUlT_E0_NS1_11comp_targetILNS1_3genE5ELNS1_11target_archE942ELNS1_3gpuE9ELNS1_3repE0EEENS1_30default_config_static_selectorELNS0_4arch9wavefront6targetE1EEEvSP_.uses_flat_scratch, 0
	.set _ZN7rocprim17ROCPRIM_400000_NS6detail17trampoline_kernelINS0_14default_configENS1_21merge_config_selectorIiNS0_10empty_typeEEEZNS1_10merge_implIS3_N6thrust23THRUST_200600_302600_NS6detail15normal_iteratorINS9_10device_ptrIKiEEEESF_NSB_INSC_IiEEEEPS5_SI_SI_NS9_4lessIiEEEE10hipError_tPvRmT0_T1_T2_T3_T4_T5_mmT6_P12ihipStream_tbEUlT_E0_NS1_11comp_targetILNS1_3genE5ELNS1_11target_archE942ELNS1_3gpuE9ELNS1_3repE0EEENS1_30default_config_static_selectorELNS0_4arch9wavefront6targetE1EEEvSP_.has_dyn_sized_stack, 0
	.set _ZN7rocprim17ROCPRIM_400000_NS6detail17trampoline_kernelINS0_14default_configENS1_21merge_config_selectorIiNS0_10empty_typeEEEZNS1_10merge_implIS3_N6thrust23THRUST_200600_302600_NS6detail15normal_iteratorINS9_10device_ptrIKiEEEESF_NSB_INSC_IiEEEEPS5_SI_SI_NS9_4lessIiEEEE10hipError_tPvRmT0_T1_T2_T3_T4_T5_mmT6_P12ihipStream_tbEUlT_E0_NS1_11comp_targetILNS1_3genE5ELNS1_11target_archE942ELNS1_3gpuE9ELNS1_3repE0EEENS1_30default_config_static_selectorELNS0_4arch9wavefront6targetE1EEEvSP_.has_recursion, 0
	.set _ZN7rocprim17ROCPRIM_400000_NS6detail17trampoline_kernelINS0_14default_configENS1_21merge_config_selectorIiNS0_10empty_typeEEEZNS1_10merge_implIS3_N6thrust23THRUST_200600_302600_NS6detail15normal_iteratorINS9_10device_ptrIKiEEEESF_NSB_INSC_IiEEEEPS5_SI_SI_NS9_4lessIiEEEE10hipError_tPvRmT0_T1_T2_T3_T4_T5_mmT6_P12ihipStream_tbEUlT_E0_NS1_11comp_targetILNS1_3genE5ELNS1_11target_archE942ELNS1_3gpuE9ELNS1_3repE0EEENS1_30default_config_static_selectorELNS0_4arch9wavefront6targetE1EEEvSP_.has_indirect_call, 0
	.section	.AMDGPU.csdata,"",@progbits
; Kernel info:
; codeLenInByte = 0
; TotalNumSgprs: 6
; NumVgprs: 0
; NumAgprs: 0
; TotalNumVgprs: 0
; ScratchSize: 0
; MemoryBound: 0
; FloatMode: 240
; IeeeMode: 1
; LDSByteSize: 0 bytes/workgroup (compile time only)
; SGPRBlocks: 0
; VGPRBlocks: 0
; NumSGPRsForWavesPerEU: 6
; NumVGPRsForWavesPerEU: 1
; AccumOffset: 4
; Occupancy: 8
; WaveLimiterHint : 0
; COMPUTE_PGM_RSRC2:SCRATCH_EN: 0
; COMPUTE_PGM_RSRC2:USER_SGPR: 2
; COMPUTE_PGM_RSRC2:TRAP_HANDLER: 0
; COMPUTE_PGM_RSRC2:TGID_X_EN: 1
; COMPUTE_PGM_RSRC2:TGID_Y_EN: 0
; COMPUTE_PGM_RSRC2:TGID_Z_EN: 0
; COMPUTE_PGM_RSRC2:TIDIG_COMP_CNT: 0
; COMPUTE_PGM_RSRC3_GFX90A:ACCUM_OFFSET: 0
; COMPUTE_PGM_RSRC3_GFX90A:TG_SPLIT: 0
	.section	.text._ZN7rocprim17ROCPRIM_400000_NS6detail17trampoline_kernelINS0_14default_configENS1_21merge_config_selectorIiNS0_10empty_typeEEEZNS1_10merge_implIS3_N6thrust23THRUST_200600_302600_NS6detail15normal_iteratorINS9_10device_ptrIKiEEEESF_NSB_INSC_IiEEEEPS5_SI_SI_NS9_4lessIiEEEE10hipError_tPvRmT0_T1_T2_T3_T4_T5_mmT6_P12ihipStream_tbEUlT_E0_NS1_11comp_targetILNS1_3genE4ELNS1_11target_archE910ELNS1_3gpuE8ELNS1_3repE0EEENS1_30default_config_static_selectorELNS0_4arch9wavefront6targetE1EEEvSP_,"axG",@progbits,_ZN7rocprim17ROCPRIM_400000_NS6detail17trampoline_kernelINS0_14default_configENS1_21merge_config_selectorIiNS0_10empty_typeEEEZNS1_10merge_implIS3_N6thrust23THRUST_200600_302600_NS6detail15normal_iteratorINS9_10device_ptrIKiEEEESF_NSB_INSC_IiEEEEPS5_SI_SI_NS9_4lessIiEEEE10hipError_tPvRmT0_T1_T2_T3_T4_T5_mmT6_P12ihipStream_tbEUlT_E0_NS1_11comp_targetILNS1_3genE4ELNS1_11target_archE910ELNS1_3gpuE8ELNS1_3repE0EEENS1_30default_config_static_selectorELNS0_4arch9wavefront6targetE1EEEvSP_,comdat
	.protected	_ZN7rocprim17ROCPRIM_400000_NS6detail17trampoline_kernelINS0_14default_configENS1_21merge_config_selectorIiNS0_10empty_typeEEEZNS1_10merge_implIS3_N6thrust23THRUST_200600_302600_NS6detail15normal_iteratorINS9_10device_ptrIKiEEEESF_NSB_INSC_IiEEEEPS5_SI_SI_NS9_4lessIiEEEE10hipError_tPvRmT0_T1_T2_T3_T4_T5_mmT6_P12ihipStream_tbEUlT_E0_NS1_11comp_targetILNS1_3genE4ELNS1_11target_archE910ELNS1_3gpuE8ELNS1_3repE0EEENS1_30default_config_static_selectorELNS0_4arch9wavefront6targetE1EEEvSP_ ; -- Begin function _ZN7rocprim17ROCPRIM_400000_NS6detail17trampoline_kernelINS0_14default_configENS1_21merge_config_selectorIiNS0_10empty_typeEEEZNS1_10merge_implIS3_N6thrust23THRUST_200600_302600_NS6detail15normal_iteratorINS9_10device_ptrIKiEEEESF_NSB_INSC_IiEEEEPS5_SI_SI_NS9_4lessIiEEEE10hipError_tPvRmT0_T1_T2_T3_T4_T5_mmT6_P12ihipStream_tbEUlT_E0_NS1_11comp_targetILNS1_3genE4ELNS1_11target_archE910ELNS1_3gpuE8ELNS1_3repE0EEENS1_30default_config_static_selectorELNS0_4arch9wavefront6targetE1EEEvSP_
	.globl	_ZN7rocprim17ROCPRIM_400000_NS6detail17trampoline_kernelINS0_14default_configENS1_21merge_config_selectorIiNS0_10empty_typeEEEZNS1_10merge_implIS3_N6thrust23THRUST_200600_302600_NS6detail15normal_iteratorINS9_10device_ptrIKiEEEESF_NSB_INSC_IiEEEEPS5_SI_SI_NS9_4lessIiEEEE10hipError_tPvRmT0_T1_T2_T3_T4_T5_mmT6_P12ihipStream_tbEUlT_E0_NS1_11comp_targetILNS1_3genE4ELNS1_11target_archE910ELNS1_3gpuE8ELNS1_3repE0EEENS1_30default_config_static_selectorELNS0_4arch9wavefront6targetE1EEEvSP_
	.p2align	8
	.type	_ZN7rocprim17ROCPRIM_400000_NS6detail17trampoline_kernelINS0_14default_configENS1_21merge_config_selectorIiNS0_10empty_typeEEEZNS1_10merge_implIS3_N6thrust23THRUST_200600_302600_NS6detail15normal_iteratorINS9_10device_ptrIKiEEEESF_NSB_INSC_IiEEEEPS5_SI_SI_NS9_4lessIiEEEE10hipError_tPvRmT0_T1_T2_T3_T4_T5_mmT6_P12ihipStream_tbEUlT_E0_NS1_11comp_targetILNS1_3genE4ELNS1_11target_archE910ELNS1_3gpuE8ELNS1_3repE0EEENS1_30default_config_static_selectorELNS0_4arch9wavefront6targetE1EEEvSP_,@function
_ZN7rocprim17ROCPRIM_400000_NS6detail17trampoline_kernelINS0_14default_configENS1_21merge_config_selectorIiNS0_10empty_typeEEEZNS1_10merge_implIS3_N6thrust23THRUST_200600_302600_NS6detail15normal_iteratorINS9_10device_ptrIKiEEEESF_NSB_INSC_IiEEEEPS5_SI_SI_NS9_4lessIiEEEE10hipError_tPvRmT0_T1_T2_T3_T4_T5_mmT6_P12ihipStream_tbEUlT_E0_NS1_11comp_targetILNS1_3genE4ELNS1_11target_archE910ELNS1_3gpuE8ELNS1_3repE0EEENS1_30default_config_static_selectorELNS0_4arch9wavefront6targetE1EEEvSP_: ; @_ZN7rocprim17ROCPRIM_400000_NS6detail17trampoline_kernelINS0_14default_configENS1_21merge_config_selectorIiNS0_10empty_typeEEEZNS1_10merge_implIS3_N6thrust23THRUST_200600_302600_NS6detail15normal_iteratorINS9_10device_ptrIKiEEEESF_NSB_INSC_IiEEEEPS5_SI_SI_NS9_4lessIiEEEE10hipError_tPvRmT0_T1_T2_T3_T4_T5_mmT6_P12ihipStream_tbEUlT_E0_NS1_11comp_targetILNS1_3genE4ELNS1_11target_archE910ELNS1_3gpuE8ELNS1_3repE0EEENS1_30default_config_static_selectorELNS0_4arch9wavefront6targetE1EEEvSP_
; %bb.0:
	.section	.rodata,"a",@progbits
	.p2align	6, 0x0
	.amdhsa_kernel _ZN7rocprim17ROCPRIM_400000_NS6detail17trampoline_kernelINS0_14default_configENS1_21merge_config_selectorIiNS0_10empty_typeEEEZNS1_10merge_implIS3_N6thrust23THRUST_200600_302600_NS6detail15normal_iteratorINS9_10device_ptrIKiEEEESF_NSB_INSC_IiEEEEPS5_SI_SI_NS9_4lessIiEEEE10hipError_tPvRmT0_T1_T2_T3_T4_T5_mmT6_P12ihipStream_tbEUlT_E0_NS1_11comp_targetILNS1_3genE4ELNS1_11target_archE910ELNS1_3gpuE8ELNS1_3repE0EEENS1_30default_config_static_selectorELNS0_4arch9wavefront6targetE1EEEvSP_
		.amdhsa_group_segment_fixed_size 0
		.amdhsa_private_segment_fixed_size 0
		.amdhsa_kernarg_size 88
		.amdhsa_user_sgpr_count 2
		.amdhsa_user_sgpr_dispatch_ptr 0
		.amdhsa_user_sgpr_queue_ptr 0
		.amdhsa_user_sgpr_kernarg_segment_ptr 1
		.amdhsa_user_sgpr_dispatch_id 0
		.amdhsa_user_sgpr_kernarg_preload_length 0
		.amdhsa_user_sgpr_kernarg_preload_offset 0
		.amdhsa_user_sgpr_private_segment_size 0
		.amdhsa_uses_dynamic_stack 0
		.amdhsa_enable_private_segment 0
		.amdhsa_system_sgpr_workgroup_id_x 1
		.amdhsa_system_sgpr_workgroup_id_y 0
		.amdhsa_system_sgpr_workgroup_id_z 0
		.amdhsa_system_sgpr_workgroup_info 0
		.amdhsa_system_vgpr_workitem_id 0
		.amdhsa_next_free_vgpr 1
		.amdhsa_next_free_sgpr 0
		.amdhsa_accum_offset 4
		.amdhsa_reserve_vcc 0
		.amdhsa_float_round_mode_32 0
		.amdhsa_float_round_mode_16_64 0
		.amdhsa_float_denorm_mode_32 3
		.amdhsa_float_denorm_mode_16_64 3
		.amdhsa_dx10_clamp 1
		.amdhsa_ieee_mode 1
		.amdhsa_fp16_overflow 0
		.amdhsa_tg_split 0
		.amdhsa_exception_fp_ieee_invalid_op 0
		.amdhsa_exception_fp_denorm_src 0
		.amdhsa_exception_fp_ieee_div_zero 0
		.amdhsa_exception_fp_ieee_overflow 0
		.amdhsa_exception_fp_ieee_underflow 0
		.amdhsa_exception_fp_ieee_inexact 0
		.amdhsa_exception_int_div_zero 0
	.end_amdhsa_kernel
	.section	.text._ZN7rocprim17ROCPRIM_400000_NS6detail17trampoline_kernelINS0_14default_configENS1_21merge_config_selectorIiNS0_10empty_typeEEEZNS1_10merge_implIS3_N6thrust23THRUST_200600_302600_NS6detail15normal_iteratorINS9_10device_ptrIKiEEEESF_NSB_INSC_IiEEEEPS5_SI_SI_NS9_4lessIiEEEE10hipError_tPvRmT0_T1_T2_T3_T4_T5_mmT6_P12ihipStream_tbEUlT_E0_NS1_11comp_targetILNS1_3genE4ELNS1_11target_archE910ELNS1_3gpuE8ELNS1_3repE0EEENS1_30default_config_static_selectorELNS0_4arch9wavefront6targetE1EEEvSP_,"axG",@progbits,_ZN7rocprim17ROCPRIM_400000_NS6detail17trampoline_kernelINS0_14default_configENS1_21merge_config_selectorIiNS0_10empty_typeEEEZNS1_10merge_implIS3_N6thrust23THRUST_200600_302600_NS6detail15normal_iteratorINS9_10device_ptrIKiEEEESF_NSB_INSC_IiEEEEPS5_SI_SI_NS9_4lessIiEEEE10hipError_tPvRmT0_T1_T2_T3_T4_T5_mmT6_P12ihipStream_tbEUlT_E0_NS1_11comp_targetILNS1_3genE4ELNS1_11target_archE910ELNS1_3gpuE8ELNS1_3repE0EEENS1_30default_config_static_selectorELNS0_4arch9wavefront6targetE1EEEvSP_,comdat
.Lfunc_end12:
	.size	_ZN7rocprim17ROCPRIM_400000_NS6detail17trampoline_kernelINS0_14default_configENS1_21merge_config_selectorIiNS0_10empty_typeEEEZNS1_10merge_implIS3_N6thrust23THRUST_200600_302600_NS6detail15normal_iteratorINS9_10device_ptrIKiEEEESF_NSB_INSC_IiEEEEPS5_SI_SI_NS9_4lessIiEEEE10hipError_tPvRmT0_T1_T2_T3_T4_T5_mmT6_P12ihipStream_tbEUlT_E0_NS1_11comp_targetILNS1_3genE4ELNS1_11target_archE910ELNS1_3gpuE8ELNS1_3repE0EEENS1_30default_config_static_selectorELNS0_4arch9wavefront6targetE1EEEvSP_, .Lfunc_end12-_ZN7rocprim17ROCPRIM_400000_NS6detail17trampoline_kernelINS0_14default_configENS1_21merge_config_selectorIiNS0_10empty_typeEEEZNS1_10merge_implIS3_N6thrust23THRUST_200600_302600_NS6detail15normal_iteratorINS9_10device_ptrIKiEEEESF_NSB_INSC_IiEEEEPS5_SI_SI_NS9_4lessIiEEEE10hipError_tPvRmT0_T1_T2_T3_T4_T5_mmT6_P12ihipStream_tbEUlT_E0_NS1_11comp_targetILNS1_3genE4ELNS1_11target_archE910ELNS1_3gpuE8ELNS1_3repE0EEENS1_30default_config_static_selectorELNS0_4arch9wavefront6targetE1EEEvSP_
                                        ; -- End function
	.set _ZN7rocprim17ROCPRIM_400000_NS6detail17trampoline_kernelINS0_14default_configENS1_21merge_config_selectorIiNS0_10empty_typeEEEZNS1_10merge_implIS3_N6thrust23THRUST_200600_302600_NS6detail15normal_iteratorINS9_10device_ptrIKiEEEESF_NSB_INSC_IiEEEEPS5_SI_SI_NS9_4lessIiEEEE10hipError_tPvRmT0_T1_T2_T3_T4_T5_mmT6_P12ihipStream_tbEUlT_E0_NS1_11comp_targetILNS1_3genE4ELNS1_11target_archE910ELNS1_3gpuE8ELNS1_3repE0EEENS1_30default_config_static_selectorELNS0_4arch9wavefront6targetE1EEEvSP_.num_vgpr, 0
	.set _ZN7rocprim17ROCPRIM_400000_NS6detail17trampoline_kernelINS0_14default_configENS1_21merge_config_selectorIiNS0_10empty_typeEEEZNS1_10merge_implIS3_N6thrust23THRUST_200600_302600_NS6detail15normal_iteratorINS9_10device_ptrIKiEEEESF_NSB_INSC_IiEEEEPS5_SI_SI_NS9_4lessIiEEEE10hipError_tPvRmT0_T1_T2_T3_T4_T5_mmT6_P12ihipStream_tbEUlT_E0_NS1_11comp_targetILNS1_3genE4ELNS1_11target_archE910ELNS1_3gpuE8ELNS1_3repE0EEENS1_30default_config_static_selectorELNS0_4arch9wavefront6targetE1EEEvSP_.num_agpr, 0
	.set _ZN7rocprim17ROCPRIM_400000_NS6detail17trampoline_kernelINS0_14default_configENS1_21merge_config_selectorIiNS0_10empty_typeEEEZNS1_10merge_implIS3_N6thrust23THRUST_200600_302600_NS6detail15normal_iteratorINS9_10device_ptrIKiEEEESF_NSB_INSC_IiEEEEPS5_SI_SI_NS9_4lessIiEEEE10hipError_tPvRmT0_T1_T2_T3_T4_T5_mmT6_P12ihipStream_tbEUlT_E0_NS1_11comp_targetILNS1_3genE4ELNS1_11target_archE910ELNS1_3gpuE8ELNS1_3repE0EEENS1_30default_config_static_selectorELNS0_4arch9wavefront6targetE1EEEvSP_.numbered_sgpr, 0
	.set _ZN7rocprim17ROCPRIM_400000_NS6detail17trampoline_kernelINS0_14default_configENS1_21merge_config_selectorIiNS0_10empty_typeEEEZNS1_10merge_implIS3_N6thrust23THRUST_200600_302600_NS6detail15normal_iteratorINS9_10device_ptrIKiEEEESF_NSB_INSC_IiEEEEPS5_SI_SI_NS9_4lessIiEEEE10hipError_tPvRmT0_T1_T2_T3_T4_T5_mmT6_P12ihipStream_tbEUlT_E0_NS1_11comp_targetILNS1_3genE4ELNS1_11target_archE910ELNS1_3gpuE8ELNS1_3repE0EEENS1_30default_config_static_selectorELNS0_4arch9wavefront6targetE1EEEvSP_.num_named_barrier, 0
	.set _ZN7rocprim17ROCPRIM_400000_NS6detail17trampoline_kernelINS0_14default_configENS1_21merge_config_selectorIiNS0_10empty_typeEEEZNS1_10merge_implIS3_N6thrust23THRUST_200600_302600_NS6detail15normal_iteratorINS9_10device_ptrIKiEEEESF_NSB_INSC_IiEEEEPS5_SI_SI_NS9_4lessIiEEEE10hipError_tPvRmT0_T1_T2_T3_T4_T5_mmT6_P12ihipStream_tbEUlT_E0_NS1_11comp_targetILNS1_3genE4ELNS1_11target_archE910ELNS1_3gpuE8ELNS1_3repE0EEENS1_30default_config_static_selectorELNS0_4arch9wavefront6targetE1EEEvSP_.private_seg_size, 0
	.set _ZN7rocprim17ROCPRIM_400000_NS6detail17trampoline_kernelINS0_14default_configENS1_21merge_config_selectorIiNS0_10empty_typeEEEZNS1_10merge_implIS3_N6thrust23THRUST_200600_302600_NS6detail15normal_iteratorINS9_10device_ptrIKiEEEESF_NSB_INSC_IiEEEEPS5_SI_SI_NS9_4lessIiEEEE10hipError_tPvRmT0_T1_T2_T3_T4_T5_mmT6_P12ihipStream_tbEUlT_E0_NS1_11comp_targetILNS1_3genE4ELNS1_11target_archE910ELNS1_3gpuE8ELNS1_3repE0EEENS1_30default_config_static_selectorELNS0_4arch9wavefront6targetE1EEEvSP_.uses_vcc, 0
	.set _ZN7rocprim17ROCPRIM_400000_NS6detail17trampoline_kernelINS0_14default_configENS1_21merge_config_selectorIiNS0_10empty_typeEEEZNS1_10merge_implIS3_N6thrust23THRUST_200600_302600_NS6detail15normal_iteratorINS9_10device_ptrIKiEEEESF_NSB_INSC_IiEEEEPS5_SI_SI_NS9_4lessIiEEEE10hipError_tPvRmT0_T1_T2_T3_T4_T5_mmT6_P12ihipStream_tbEUlT_E0_NS1_11comp_targetILNS1_3genE4ELNS1_11target_archE910ELNS1_3gpuE8ELNS1_3repE0EEENS1_30default_config_static_selectorELNS0_4arch9wavefront6targetE1EEEvSP_.uses_flat_scratch, 0
	.set _ZN7rocprim17ROCPRIM_400000_NS6detail17trampoline_kernelINS0_14default_configENS1_21merge_config_selectorIiNS0_10empty_typeEEEZNS1_10merge_implIS3_N6thrust23THRUST_200600_302600_NS6detail15normal_iteratorINS9_10device_ptrIKiEEEESF_NSB_INSC_IiEEEEPS5_SI_SI_NS9_4lessIiEEEE10hipError_tPvRmT0_T1_T2_T3_T4_T5_mmT6_P12ihipStream_tbEUlT_E0_NS1_11comp_targetILNS1_3genE4ELNS1_11target_archE910ELNS1_3gpuE8ELNS1_3repE0EEENS1_30default_config_static_selectorELNS0_4arch9wavefront6targetE1EEEvSP_.has_dyn_sized_stack, 0
	.set _ZN7rocprim17ROCPRIM_400000_NS6detail17trampoline_kernelINS0_14default_configENS1_21merge_config_selectorIiNS0_10empty_typeEEEZNS1_10merge_implIS3_N6thrust23THRUST_200600_302600_NS6detail15normal_iteratorINS9_10device_ptrIKiEEEESF_NSB_INSC_IiEEEEPS5_SI_SI_NS9_4lessIiEEEE10hipError_tPvRmT0_T1_T2_T3_T4_T5_mmT6_P12ihipStream_tbEUlT_E0_NS1_11comp_targetILNS1_3genE4ELNS1_11target_archE910ELNS1_3gpuE8ELNS1_3repE0EEENS1_30default_config_static_selectorELNS0_4arch9wavefront6targetE1EEEvSP_.has_recursion, 0
	.set _ZN7rocprim17ROCPRIM_400000_NS6detail17trampoline_kernelINS0_14default_configENS1_21merge_config_selectorIiNS0_10empty_typeEEEZNS1_10merge_implIS3_N6thrust23THRUST_200600_302600_NS6detail15normal_iteratorINS9_10device_ptrIKiEEEESF_NSB_INSC_IiEEEEPS5_SI_SI_NS9_4lessIiEEEE10hipError_tPvRmT0_T1_T2_T3_T4_T5_mmT6_P12ihipStream_tbEUlT_E0_NS1_11comp_targetILNS1_3genE4ELNS1_11target_archE910ELNS1_3gpuE8ELNS1_3repE0EEENS1_30default_config_static_selectorELNS0_4arch9wavefront6targetE1EEEvSP_.has_indirect_call, 0
	.section	.AMDGPU.csdata,"",@progbits
; Kernel info:
; codeLenInByte = 0
; TotalNumSgprs: 6
; NumVgprs: 0
; NumAgprs: 0
; TotalNumVgprs: 0
; ScratchSize: 0
; MemoryBound: 0
; FloatMode: 240
; IeeeMode: 1
; LDSByteSize: 0 bytes/workgroup (compile time only)
; SGPRBlocks: 0
; VGPRBlocks: 0
; NumSGPRsForWavesPerEU: 6
; NumVGPRsForWavesPerEU: 1
; AccumOffset: 4
; Occupancy: 8
; WaveLimiterHint : 0
; COMPUTE_PGM_RSRC2:SCRATCH_EN: 0
; COMPUTE_PGM_RSRC2:USER_SGPR: 2
; COMPUTE_PGM_RSRC2:TRAP_HANDLER: 0
; COMPUTE_PGM_RSRC2:TGID_X_EN: 1
; COMPUTE_PGM_RSRC2:TGID_Y_EN: 0
; COMPUTE_PGM_RSRC2:TGID_Z_EN: 0
; COMPUTE_PGM_RSRC2:TIDIG_COMP_CNT: 0
; COMPUTE_PGM_RSRC3_GFX90A:ACCUM_OFFSET: 0
; COMPUTE_PGM_RSRC3_GFX90A:TG_SPLIT: 0
	.section	.text._ZN7rocprim17ROCPRIM_400000_NS6detail17trampoline_kernelINS0_14default_configENS1_21merge_config_selectorIiNS0_10empty_typeEEEZNS1_10merge_implIS3_N6thrust23THRUST_200600_302600_NS6detail15normal_iteratorINS9_10device_ptrIKiEEEESF_NSB_INSC_IiEEEEPS5_SI_SI_NS9_4lessIiEEEE10hipError_tPvRmT0_T1_T2_T3_T4_T5_mmT6_P12ihipStream_tbEUlT_E0_NS1_11comp_targetILNS1_3genE3ELNS1_11target_archE908ELNS1_3gpuE7ELNS1_3repE0EEENS1_30default_config_static_selectorELNS0_4arch9wavefront6targetE1EEEvSP_,"axG",@progbits,_ZN7rocprim17ROCPRIM_400000_NS6detail17trampoline_kernelINS0_14default_configENS1_21merge_config_selectorIiNS0_10empty_typeEEEZNS1_10merge_implIS3_N6thrust23THRUST_200600_302600_NS6detail15normal_iteratorINS9_10device_ptrIKiEEEESF_NSB_INSC_IiEEEEPS5_SI_SI_NS9_4lessIiEEEE10hipError_tPvRmT0_T1_T2_T3_T4_T5_mmT6_P12ihipStream_tbEUlT_E0_NS1_11comp_targetILNS1_3genE3ELNS1_11target_archE908ELNS1_3gpuE7ELNS1_3repE0EEENS1_30default_config_static_selectorELNS0_4arch9wavefront6targetE1EEEvSP_,comdat
	.protected	_ZN7rocprim17ROCPRIM_400000_NS6detail17trampoline_kernelINS0_14default_configENS1_21merge_config_selectorIiNS0_10empty_typeEEEZNS1_10merge_implIS3_N6thrust23THRUST_200600_302600_NS6detail15normal_iteratorINS9_10device_ptrIKiEEEESF_NSB_INSC_IiEEEEPS5_SI_SI_NS9_4lessIiEEEE10hipError_tPvRmT0_T1_T2_T3_T4_T5_mmT6_P12ihipStream_tbEUlT_E0_NS1_11comp_targetILNS1_3genE3ELNS1_11target_archE908ELNS1_3gpuE7ELNS1_3repE0EEENS1_30default_config_static_selectorELNS0_4arch9wavefront6targetE1EEEvSP_ ; -- Begin function _ZN7rocprim17ROCPRIM_400000_NS6detail17trampoline_kernelINS0_14default_configENS1_21merge_config_selectorIiNS0_10empty_typeEEEZNS1_10merge_implIS3_N6thrust23THRUST_200600_302600_NS6detail15normal_iteratorINS9_10device_ptrIKiEEEESF_NSB_INSC_IiEEEEPS5_SI_SI_NS9_4lessIiEEEE10hipError_tPvRmT0_T1_T2_T3_T4_T5_mmT6_P12ihipStream_tbEUlT_E0_NS1_11comp_targetILNS1_3genE3ELNS1_11target_archE908ELNS1_3gpuE7ELNS1_3repE0EEENS1_30default_config_static_selectorELNS0_4arch9wavefront6targetE1EEEvSP_
	.globl	_ZN7rocprim17ROCPRIM_400000_NS6detail17trampoline_kernelINS0_14default_configENS1_21merge_config_selectorIiNS0_10empty_typeEEEZNS1_10merge_implIS3_N6thrust23THRUST_200600_302600_NS6detail15normal_iteratorINS9_10device_ptrIKiEEEESF_NSB_INSC_IiEEEEPS5_SI_SI_NS9_4lessIiEEEE10hipError_tPvRmT0_T1_T2_T3_T4_T5_mmT6_P12ihipStream_tbEUlT_E0_NS1_11comp_targetILNS1_3genE3ELNS1_11target_archE908ELNS1_3gpuE7ELNS1_3repE0EEENS1_30default_config_static_selectorELNS0_4arch9wavefront6targetE1EEEvSP_
	.p2align	8
	.type	_ZN7rocprim17ROCPRIM_400000_NS6detail17trampoline_kernelINS0_14default_configENS1_21merge_config_selectorIiNS0_10empty_typeEEEZNS1_10merge_implIS3_N6thrust23THRUST_200600_302600_NS6detail15normal_iteratorINS9_10device_ptrIKiEEEESF_NSB_INSC_IiEEEEPS5_SI_SI_NS9_4lessIiEEEE10hipError_tPvRmT0_T1_T2_T3_T4_T5_mmT6_P12ihipStream_tbEUlT_E0_NS1_11comp_targetILNS1_3genE3ELNS1_11target_archE908ELNS1_3gpuE7ELNS1_3repE0EEENS1_30default_config_static_selectorELNS0_4arch9wavefront6targetE1EEEvSP_,@function
_ZN7rocprim17ROCPRIM_400000_NS6detail17trampoline_kernelINS0_14default_configENS1_21merge_config_selectorIiNS0_10empty_typeEEEZNS1_10merge_implIS3_N6thrust23THRUST_200600_302600_NS6detail15normal_iteratorINS9_10device_ptrIKiEEEESF_NSB_INSC_IiEEEEPS5_SI_SI_NS9_4lessIiEEEE10hipError_tPvRmT0_T1_T2_T3_T4_T5_mmT6_P12ihipStream_tbEUlT_E0_NS1_11comp_targetILNS1_3genE3ELNS1_11target_archE908ELNS1_3gpuE7ELNS1_3repE0EEENS1_30default_config_static_selectorELNS0_4arch9wavefront6targetE1EEEvSP_: ; @_ZN7rocprim17ROCPRIM_400000_NS6detail17trampoline_kernelINS0_14default_configENS1_21merge_config_selectorIiNS0_10empty_typeEEEZNS1_10merge_implIS3_N6thrust23THRUST_200600_302600_NS6detail15normal_iteratorINS9_10device_ptrIKiEEEESF_NSB_INSC_IiEEEEPS5_SI_SI_NS9_4lessIiEEEE10hipError_tPvRmT0_T1_T2_T3_T4_T5_mmT6_P12ihipStream_tbEUlT_E0_NS1_11comp_targetILNS1_3genE3ELNS1_11target_archE908ELNS1_3gpuE7ELNS1_3repE0EEENS1_30default_config_static_selectorELNS0_4arch9wavefront6targetE1EEEvSP_
; %bb.0:
	.section	.rodata,"a",@progbits
	.p2align	6, 0x0
	.amdhsa_kernel _ZN7rocprim17ROCPRIM_400000_NS6detail17trampoline_kernelINS0_14default_configENS1_21merge_config_selectorIiNS0_10empty_typeEEEZNS1_10merge_implIS3_N6thrust23THRUST_200600_302600_NS6detail15normal_iteratorINS9_10device_ptrIKiEEEESF_NSB_INSC_IiEEEEPS5_SI_SI_NS9_4lessIiEEEE10hipError_tPvRmT0_T1_T2_T3_T4_T5_mmT6_P12ihipStream_tbEUlT_E0_NS1_11comp_targetILNS1_3genE3ELNS1_11target_archE908ELNS1_3gpuE7ELNS1_3repE0EEENS1_30default_config_static_selectorELNS0_4arch9wavefront6targetE1EEEvSP_
		.amdhsa_group_segment_fixed_size 0
		.amdhsa_private_segment_fixed_size 0
		.amdhsa_kernarg_size 88
		.amdhsa_user_sgpr_count 2
		.amdhsa_user_sgpr_dispatch_ptr 0
		.amdhsa_user_sgpr_queue_ptr 0
		.amdhsa_user_sgpr_kernarg_segment_ptr 1
		.amdhsa_user_sgpr_dispatch_id 0
		.amdhsa_user_sgpr_kernarg_preload_length 0
		.amdhsa_user_sgpr_kernarg_preload_offset 0
		.amdhsa_user_sgpr_private_segment_size 0
		.amdhsa_uses_dynamic_stack 0
		.amdhsa_enable_private_segment 0
		.amdhsa_system_sgpr_workgroup_id_x 1
		.amdhsa_system_sgpr_workgroup_id_y 0
		.amdhsa_system_sgpr_workgroup_id_z 0
		.amdhsa_system_sgpr_workgroup_info 0
		.amdhsa_system_vgpr_workitem_id 0
		.amdhsa_next_free_vgpr 1
		.amdhsa_next_free_sgpr 0
		.amdhsa_accum_offset 4
		.amdhsa_reserve_vcc 0
		.amdhsa_float_round_mode_32 0
		.amdhsa_float_round_mode_16_64 0
		.amdhsa_float_denorm_mode_32 3
		.amdhsa_float_denorm_mode_16_64 3
		.amdhsa_dx10_clamp 1
		.amdhsa_ieee_mode 1
		.amdhsa_fp16_overflow 0
		.amdhsa_tg_split 0
		.amdhsa_exception_fp_ieee_invalid_op 0
		.amdhsa_exception_fp_denorm_src 0
		.amdhsa_exception_fp_ieee_div_zero 0
		.amdhsa_exception_fp_ieee_overflow 0
		.amdhsa_exception_fp_ieee_underflow 0
		.amdhsa_exception_fp_ieee_inexact 0
		.amdhsa_exception_int_div_zero 0
	.end_amdhsa_kernel
	.section	.text._ZN7rocprim17ROCPRIM_400000_NS6detail17trampoline_kernelINS0_14default_configENS1_21merge_config_selectorIiNS0_10empty_typeEEEZNS1_10merge_implIS3_N6thrust23THRUST_200600_302600_NS6detail15normal_iteratorINS9_10device_ptrIKiEEEESF_NSB_INSC_IiEEEEPS5_SI_SI_NS9_4lessIiEEEE10hipError_tPvRmT0_T1_T2_T3_T4_T5_mmT6_P12ihipStream_tbEUlT_E0_NS1_11comp_targetILNS1_3genE3ELNS1_11target_archE908ELNS1_3gpuE7ELNS1_3repE0EEENS1_30default_config_static_selectorELNS0_4arch9wavefront6targetE1EEEvSP_,"axG",@progbits,_ZN7rocprim17ROCPRIM_400000_NS6detail17trampoline_kernelINS0_14default_configENS1_21merge_config_selectorIiNS0_10empty_typeEEEZNS1_10merge_implIS3_N6thrust23THRUST_200600_302600_NS6detail15normal_iteratorINS9_10device_ptrIKiEEEESF_NSB_INSC_IiEEEEPS5_SI_SI_NS9_4lessIiEEEE10hipError_tPvRmT0_T1_T2_T3_T4_T5_mmT6_P12ihipStream_tbEUlT_E0_NS1_11comp_targetILNS1_3genE3ELNS1_11target_archE908ELNS1_3gpuE7ELNS1_3repE0EEENS1_30default_config_static_selectorELNS0_4arch9wavefront6targetE1EEEvSP_,comdat
.Lfunc_end13:
	.size	_ZN7rocprim17ROCPRIM_400000_NS6detail17trampoline_kernelINS0_14default_configENS1_21merge_config_selectorIiNS0_10empty_typeEEEZNS1_10merge_implIS3_N6thrust23THRUST_200600_302600_NS6detail15normal_iteratorINS9_10device_ptrIKiEEEESF_NSB_INSC_IiEEEEPS5_SI_SI_NS9_4lessIiEEEE10hipError_tPvRmT0_T1_T2_T3_T4_T5_mmT6_P12ihipStream_tbEUlT_E0_NS1_11comp_targetILNS1_3genE3ELNS1_11target_archE908ELNS1_3gpuE7ELNS1_3repE0EEENS1_30default_config_static_selectorELNS0_4arch9wavefront6targetE1EEEvSP_, .Lfunc_end13-_ZN7rocprim17ROCPRIM_400000_NS6detail17trampoline_kernelINS0_14default_configENS1_21merge_config_selectorIiNS0_10empty_typeEEEZNS1_10merge_implIS3_N6thrust23THRUST_200600_302600_NS6detail15normal_iteratorINS9_10device_ptrIKiEEEESF_NSB_INSC_IiEEEEPS5_SI_SI_NS9_4lessIiEEEE10hipError_tPvRmT0_T1_T2_T3_T4_T5_mmT6_P12ihipStream_tbEUlT_E0_NS1_11comp_targetILNS1_3genE3ELNS1_11target_archE908ELNS1_3gpuE7ELNS1_3repE0EEENS1_30default_config_static_selectorELNS0_4arch9wavefront6targetE1EEEvSP_
                                        ; -- End function
	.set _ZN7rocprim17ROCPRIM_400000_NS6detail17trampoline_kernelINS0_14default_configENS1_21merge_config_selectorIiNS0_10empty_typeEEEZNS1_10merge_implIS3_N6thrust23THRUST_200600_302600_NS6detail15normal_iteratorINS9_10device_ptrIKiEEEESF_NSB_INSC_IiEEEEPS5_SI_SI_NS9_4lessIiEEEE10hipError_tPvRmT0_T1_T2_T3_T4_T5_mmT6_P12ihipStream_tbEUlT_E0_NS1_11comp_targetILNS1_3genE3ELNS1_11target_archE908ELNS1_3gpuE7ELNS1_3repE0EEENS1_30default_config_static_selectorELNS0_4arch9wavefront6targetE1EEEvSP_.num_vgpr, 0
	.set _ZN7rocprim17ROCPRIM_400000_NS6detail17trampoline_kernelINS0_14default_configENS1_21merge_config_selectorIiNS0_10empty_typeEEEZNS1_10merge_implIS3_N6thrust23THRUST_200600_302600_NS6detail15normal_iteratorINS9_10device_ptrIKiEEEESF_NSB_INSC_IiEEEEPS5_SI_SI_NS9_4lessIiEEEE10hipError_tPvRmT0_T1_T2_T3_T4_T5_mmT6_P12ihipStream_tbEUlT_E0_NS1_11comp_targetILNS1_3genE3ELNS1_11target_archE908ELNS1_3gpuE7ELNS1_3repE0EEENS1_30default_config_static_selectorELNS0_4arch9wavefront6targetE1EEEvSP_.num_agpr, 0
	.set _ZN7rocprim17ROCPRIM_400000_NS6detail17trampoline_kernelINS0_14default_configENS1_21merge_config_selectorIiNS0_10empty_typeEEEZNS1_10merge_implIS3_N6thrust23THRUST_200600_302600_NS6detail15normal_iteratorINS9_10device_ptrIKiEEEESF_NSB_INSC_IiEEEEPS5_SI_SI_NS9_4lessIiEEEE10hipError_tPvRmT0_T1_T2_T3_T4_T5_mmT6_P12ihipStream_tbEUlT_E0_NS1_11comp_targetILNS1_3genE3ELNS1_11target_archE908ELNS1_3gpuE7ELNS1_3repE0EEENS1_30default_config_static_selectorELNS0_4arch9wavefront6targetE1EEEvSP_.numbered_sgpr, 0
	.set _ZN7rocprim17ROCPRIM_400000_NS6detail17trampoline_kernelINS0_14default_configENS1_21merge_config_selectorIiNS0_10empty_typeEEEZNS1_10merge_implIS3_N6thrust23THRUST_200600_302600_NS6detail15normal_iteratorINS9_10device_ptrIKiEEEESF_NSB_INSC_IiEEEEPS5_SI_SI_NS9_4lessIiEEEE10hipError_tPvRmT0_T1_T2_T3_T4_T5_mmT6_P12ihipStream_tbEUlT_E0_NS1_11comp_targetILNS1_3genE3ELNS1_11target_archE908ELNS1_3gpuE7ELNS1_3repE0EEENS1_30default_config_static_selectorELNS0_4arch9wavefront6targetE1EEEvSP_.num_named_barrier, 0
	.set _ZN7rocprim17ROCPRIM_400000_NS6detail17trampoline_kernelINS0_14default_configENS1_21merge_config_selectorIiNS0_10empty_typeEEEZNS1_10merge_implIS3_N6thrust23THRUST_200600_302600_NS6detail15normal_iteratorINS9_10device_ptrIKiEEEESF_NSB_INSC_IiEEEEPS5_SI_SI_NS9_4lessIiEEEE10hipError_tPvRmT0_T1_T2_T3_T4_T5_mmT6_P12ihipStream_tbEUlT_E0_NS1_11comp_targetILNS1_3genE3ELNS1_11target_archE908ELNS1_3gpuE7ELNS1_3repE0EEENS1_30default_config_static_selectorELNS0_4arch9wavefront6targetE1EEEvSP_.private_seg_size, 0
	.set _ZN7rocprim17ROCPRIM_400000_NS6detail17trampoline_kernelINS0_14default_configENS1_21merge_config_selectorIiNS0_10empty_typeEEEZNS1_10merge_implIS3_N6thrust23THRUST_200600_302600_NS6detail15normal_iteratorINS9_10device_ptrIKiEEEESF_NSB_INSC_IiEEEEPS5_SI_SI_NS9_4lessIiEEEE10hipError_tPvRmT0_T1_T2_T3_T4_T5_mmT6_P12ihipStream_tbEUlT_E0_NS1_11comp_targetILNS1_3genE3ELNS1_11target_archE908ELNS1_3gpuE7ELNS1_3repE0EEENS1_30default_config_static_selectorELNS0_4arch9wavefront6targetE1EEEvSP_.uses_vcc, 0
	.set _ZN7rocprim17ROCPRIM_400000_NS6detail17trampoline_kernelINS0_14default_configENS1_21merge_config_selectorIiNS0_10empty_typeEEEZNS1_10merge_implIS3_N6thrust23THRUST_200600_302600_NS6detail15normal_iteratorINS9_10device_ptrIKiEEEESF_NSB_INSC_IiEEEEPS5_SI_SI_NS9_4lessIiEEEE10hipError_tPvRmT0_T1_T2_T3_T4_T5_mmT6_P12ihipStream_tbEUlT_E0_NS1_11comp_targetILNS1_3genE3ELNS1_11target_archE908ELNS1_3gpuE7ELNS1_3repE0EEENS1_30default_config_static_selectorELNS0_4arch9wavefront6targetE1EEEvSP_.uses_flat_scratch, 0
	.set _ZN7rocprim17ROCPRIM_400000_NS6detail17trampoline_kernelINS0_14default_configENS1_21merge_config_selectorIiNS0_10empty_typeEEEZNS1_10merge_implIS3_N6thrust23THRUST_200600_302600_NS6detail15normal_iteratorINS9_10device_ptrIKiEEEESF_NSB_INSC_IiEEEEPS5_SI_SI_NS9_4lessIiEEEE10hipError_tPvRmT0_T1_T2_T3_T4_T5_mmT6_P12ihipStream_tbEUlT_E0_NS1_11comp_targetILNS1_3genE3ELNS1_11target_archE908ELNS1_3gpuE7ELNS1_3repE0EEENS1_30default_config_static_selectorELNS0_4arch9wavefront6targetE1EEEvSP_.has_dyn_sized_stack, 0
	.set _ZN7rocprim17ROCPRIM_400000_NS6detail17trampoline_kernelINS0_14default_configENS1_21merge_config_selectorIiNS0_10empty_typeEEEZNS1_10merge_implIS3_N6thrust23THRUST_200600_302600_NS6detail15normal_iteratorINS9_10device_ptrIKiEEEESF_NSB_INSC_IiEEEEPS5_SI_SI_NS9_4lessIiEEEE10hipError_tPvRmT0_T1_T2_T3_T4_T5_mmT6_P12ihipStream_tbEUlT_E0_NS1_11comp_targetILNS1_3genE3ELNS1_11target_archE908ELNS1_3gpuE7ELNS1_3repE0EEENS1_30default_config_static_selectorELNS0_4arch9wavefront6targetE1EEEvSP_.has_recursion, 0
	.set _ZN7rocprim17ROCPRIM_400000_NS6detail17trampoline_kernelINS0_14default_configENS1_21merge_config_selectorIiNS0_10empty_typeEEEZNS1_10merge_implIS3_N6thrust23THRUST_200600_302600_NS6detail15normal_iteratorINS9_10device_ptrIKiEEEESF_NSB_INSC_IiEEEEPS5_SI_SI_NS9_4lessIiEEEE10hipError_tPvRmT0_T1_T2_T3_T4_T5_mmT6_P12ihipStream_tbEUlT_E0_NS1_11comp_targetILNS1_3genE3ELNS1_11target_archE908ELNS1_3gpuE7ELNS1_3repE0EEENS1_30default_config_static_selectorELNS0_4arch9wavefront6targetE1EEEvSP_.has_indirect_call, 0
	.section	.AMDGPU.csdata,"",@progbits
; Kernel info:
; codeLenInByte = 0
; TotalNumSgprs: 6
; NumVgprs: 0
; NumAgprs: 0
; TotalNumVgprs: 0
; ScratchSize: 0
; MemoryBound: 0
; FloatMode: 240
; IeeeMode: 1
; LDSByteSize: 0 bytes/workgroup (compile time only)
; SGPRBlocks: 0
; VGPRBlocks: 0
; NumSGPRsForWavesPerEU: 6
; NumVGPRsForWavesPerEU: 1
; AccumOffset: 4
; Occupancy: 8
; WaveLimiterHint : 0
; COMPUTE_PGM_RSRC2:SCRATCH_EN: 0
; COMPUTE_PGM_RSRC2:USER_SGPR: 2
; COMPUTE_PGM_RSRC2:TRAP_HANDLER: 0
; COMPUTE_PGM_RSRC2:TGID_X_EN: 1
; COMPUTE_PGM_RSRC2:TGID_Y_EN: 0
; COMPUTE_PGM_RSRC2:TGID_Z_EN: 0
; COMPUTE_PGM_RSRC2:TIDIG_COMP_CNT: 0
; COMPUTE_PGM_RSRC3_GFX90A:ACCUM_OFFSET: 0
; COMPUTE_PGM_RSRC3_GFX90A:TG_SPLIT: 0
	.section	.text._ZN7rocprim17ROCPRIM_400000_NS6detail17trampoline_kernelINS0_14default_configENS1_21merge_config_selectorIiNS0_10empty_typeEEEZNS1_10merge_implIS3_N6thrust23THRUST_200600_302600_NS6detail15normal_iteratorINS9_10device_ptrIKiEEEESF_NSB_INSC_IiEEEEPS5_SI_SI_NS9_4lessIiEEEE10hipError_tPvRmT0_T1_T2_T3_T4_T5_mmT6_P12ihipStream_tbEUlT_E0_NS1_11comp_targetILNS1_3genE2ELNS1_11target_archE906ELNS1_3gpuE6ELNS1_3repE0EEENS1_30default_config_static_selectorELNS0_4arch9wavefront6targetE1EEEvSP_,"axG",@progbits,_ZN7rocprim17ROCPRIM_400000_NS6detail17trampoline_kernelINS0_14default_configENS1_21merge_config_selectorIiNS0_10empty_typeEEEZNS1_10merge_implIS3_N6thrust23THRUST_200600_302600_NS6detail15normal_iteratorINS9_10device_ptrIKiEEEESF_NSB_INSC_IiEEEEPS5_SI_SI_NS9_4lessIiEEEE10hipError_tPvRmT0_T1_T2_T3_T4_T5_mmT6_P12ihipStream_tbEUlT_E0_NS1_11comp_targetILNS1_3genE2ELNS1_11target_archE906ELNS1_3gpuE6ELNS1_3repE0EEENS1_30default_config_static_selectorELNS0_4arch9wavefront6targetE1EEEvSP_,comdat
	.protected	_ZN7rocprim17ROCPRIM_400000_NS6detail17trampoline_kernelINS0_14default_configENS1_21merge_config_selectorIiNS0_10empty_typeEEEZNS1_10merge_implIS3_N6thrust23THRUST_200600_302600_NS6detail15normal_iteratorINS9_10device_ptrIKiEEEESF_NSB_INSC_IiEEEEPS5_SI_SI_NS9_4lessIiEEEE10hipError_tPvRmT0_T1_T2_T3_T4_T5_mmT6_P12ihipStream_tbEUlT_E0_NS1_11comp_targetILNS1_3genE2ELNS1_11target_archE906ELNS1_3gpuE6ELNS1_3repE0EEENS1_30default_config_static_selectorELNS0_4arch9wavefront6targetE1EEEvSP_ ; -- Begin function _ZN7rocprim17ROCPRIM_400000_NS6detail17trampoline_kernelINS0_14default_configENS1_21merge_config_selectorIiNS0_10empty_typeEEEZNS1_10merge_implIS3_N6thrust23THRUST_200600_302600_NS6detail15normal_iteratorINS9_10device_ptrIKiEEEESF_NSB_INSC_IiEEEEPS5_SI_SI_NS9_4lessIiEEEE10hipError_tPvRmT0_T1_T2_T3_T4_T5_mmT6_P12ihipStream_tbEUlT_E0_NS1_11comp_targetILNS1_3genE2ELNS1_11target_archE906ELNS1_3gpuE6ELNS1_3repE0EEENS1_30default_config_static_selectorELNS0_4arch9wavefront6targetE1EEEvSP_
	.globl	_ZN7rocprim17ROCPRIM_400000_NS6detail17trampoline_kernelINS0_14default_configENS1_21merge_config_selectorIiNS0_10empty_typeEEEZNS1_10merge_implIS3_N6thrust23THRUST_200600_302600_NS6detail15normal_iteratorINS9_10device_ptrIKiEEEESF_NSB_INSC_IiEEEEPS5_SI_SI_NS9_4lessIiEEEE10hipError_tPvRmT0_T1_T2_T3_T4_T5_mmT6_P12ihipStream_tbEUlT_E0_NS1_11comp_targetILNS1_3genE2ELNS1_11target_archE906ELNS1_3gpuE6ELNS1_3repE0EEENS1_30default_config_static_selectorELNS0_4arch9wavefront6targetE1EEEvSP_
	.p2align	8
	.type	_ZN7rocprim17ROCPRIM_400000_NS6detail17trampoline_kernelINS0_14default_configENS1_21merge_config_selectorIiNS0_10empty_typeEEEZNS1_10merge_implIS3_N6thrust23THRUST_200600_302600_NS6detail15normal_iteratorINS9_10device_ptrIKiEEEESF_NSB_INSC_IiEEEEPS5_SI_SI_NS9_4lessIiEEEE10hipError_tPvRmT0_T1_T2_T3_T4_T5_mmT6_P12ihipStream_tbEUlT_E0_NS1_11comp_targetILNS1_3genE2ELNS1_11target_archE906ELNS1_3gpuE6ELNS1_3repE0EEENS1_30default_config_static_selectorELNS0_4arch9wavefront6targetE1EEEvSP_,@function
_ZN7rocprim17ROCPRIM_400000_NS6detail17trampoline_kernelINS0_14default_configENS1_21merge_config_selectorIiNS0_10empty_typeEEEZNS1_10merge_implIS3_N6thrust23THRUST_200600_302600_NS6detail15normal_iteratorINS9_10device_ptrIKiEEEESF_NSB_INSC_IiEEEEPS5_SI_SI_NS9_4lessIiEEEE10hipError_tPvRmT0_T1_T2_T3_T4_T5_mmT6_P12ihipStream_tbEUlT_E0_NS1_11comp_targetILNS1_3genE2ELNS1_11target_archE906ELNS1_3gpuE6ELNS1_3repE0EEENS1_30default_config_static_selectorELNS0_4arch9wavefront6targetE1EEEvSP_: ; @_ZN7rocprim17ROCPRIM_400000_NS6detail17trampoline_kernelINS0_14default_configENS1_21merge_config_selectorIiNS0_10empty_typeEEEZNS1_10merge_implIS3_N6thrust23THRUST_200600_302600_NS6detail15normal_iteratorINS9_10device_ptrIKiEEEESF_NSB_INSC_IiEEEEPS5_SI_SI_NS9_4lessIiEEEE10hipError_tPvRmT0_T1_T2_T3_T4_T5_mmT6_P12ihipStream_tbEUlT_E0_NS1_11comp_targetILNS1_3genE2ELNS1_11target_archE906ELNS1_3gpuE6ELNS1_3repE0EEENS1_30default_config_static_selectorELNS0_4arch9wavefront6targetE1EEEvSP_
; %bb.0:
	.section	.rodata,"a",@progbits
	.p2align	6, 0x0
	.amdhsa_kernel _ZN7rocprim17ROCPRIM_400000_NS6detail17trampoline_kernelINS0_14default_configENS1_21merge_config_selectorIiNS0_10empty_typeEEEZNS1_10merge_implIS3_N6thrust23THRUST_200600_302600_NS6detail15normal_iteratorINS9_10device_ptrIKiEEEESF_NSB_INSC_IiEEEEPS5_SI_SI_NS9_4lessIiEEEE10hipError_tPvRmT0_T1_T2_T3_T4_T5_mmT6_P12ihipStream_tbEUlT_E0_NS1_11comp_targetILNS1_3genE2ELNS1_11target_archE906ELNS1_3gpuE6ELNS1_3repE0EEENS1_30default_config_static_selectorELNS0_4arch9wavefront6targetE1EEEvSP_
		.amdhsa_group_segment_fixed_size 0
		.amdhsa_private_segment_fixed_size 0
		.amdhsa_kernarg_size 88
		.amdhsa_user_sgpr_count 2
		.amdhsa_user_sgpr_dispatch_ptr 0
		.amdhsa_user_sgpr_queue_ptr 0
		.amdhsa_user_sgpr_kernarg_segment_ptr 1
		.amdhsa_user_sgpr_dispatch_id 0
		.amdhsa_user_sgpr_kernarg_preload_length 0
		.amdhsa_user_sgpr_kernarg_preload_offset 0
		.amdhsa_user_sgpr_private_segment_size 0
		.amdhsa_uses_dynamic_stack 0
		.amdhsa_enable_private_segment 0
		.amdhsa_system_sgpr_workgroup_id_x 1
		.amdhsa_system_sgpr_workgroup_id_y 0
		.amdhsa_system_sgpr_workgroup_id_z 0
		.amdhsa_system_sgpr_workgroup_info 0
		.amdhsa_system_vgpr_workitem_id 0
		.amdhsa_next_free_vgpr 1
		.amdhsa_next_free_sgpr 0
		.amdhsa_accum_offset 4
		.amdhsa_reserve_vcc 0
		.amdhsa_float_round_mode_32 0
		.amdhsa_float_round_mode_16_64 0
		.amdhsa_float_denorm_mode_32 3
		.amdhsa_float_denorm_mode_16_64 3
		.amdhsa_dx10_clamp 1
		.amdhsa_ieee_mode 1
		.amdhsa_fp16_overflow 0
		.amdhsa_tg_split 0
		.amdhsa_exception_fp_ieee_invalid_op 0
		.amdhsa_exception_fp_denorm_src 0
		.amdhsa_exception_fp_ieee_div_zero 0
		.amdhsa_exception_fp_ieee_overflow 0
		.amdhsa_exception_fp_ieee_underflow 0
		.amdhsa_exception_fp_ieee_inexact 0
		.amdhsa_exception_int_div_zero 0
	.end_amdhsa_kernel
	.section	.text._ZN7rocprim17ROCPRIM_400000_NS6detail17trampoline_kernelINS0_14default_configENS1_21merge_config_selectorIiNS0_10empty_typeEEEZNS1_10merge_implIS3_N6thrust23THRUST_200600_302600_NS6detail15normal_iteratorINS9_10device_ptrIKiEEEESF_NSB_INSC_IiEEEEPS5_SI_SI_NS9_4lessIiEEEE10hipError_tPvRmT0_T1_T2_T3_T4_T5_mmT6_P12ihipStream_tbEUlT_E0_NS1_11comp_targetILNS1_3genE2ELNS1_11target_archE906ELNS1_3gpuE6ELNS1_3repE0EEENS1_30default_config_static_selectorELNS0_4arch9wavefront6targetE1EEEvSP_,"axG",@progbits,_ZN7rocprim17ROCPRIM_400000_NS6detail17trampoline_kernelINS0_14default_configENS1_21merge_config_selectorIiNS0_10empty_typeEEEZNS1_10merge_implIS3_N6thrust23THRUST_200600_302600_NS6detail15normal_iteratorINS9_10device_ptrIKiEEEESF_NSB_INSC_IiEEEEPS5_SI_SI_NS9_4lessIiEEEE10hipError_tPvRmT0_T1_T2_T3_T4_T5_mmT6_P12ihipStream_tbEUlT_E0_NS1_11comp_targetILNS1_3genE2ELNS1_11target_archE906ELNS1_3gpuE6ELNS1_3repE0EEENS1_30default_config_static_selectorELNS0_4arch9wavefront6targetE1EEEvSP_,comdat
.Lfunc_end14:
	.size	_ZN7rocprim17ROCPRIM_400000_NS6detail17trampoline_kernelINS0_14default_configENS1_21merge_config_selectorIiNS0_10empty_typeEEEZNS1_10merge_implIS3_N6thrust23THRUST_200600_302600_NS6detail15normal_iteratorINS9_10device_ptrIKiEEEESF_NSB_INSC_IiEEEEPS5_SI_SI_NS9_4lessIiEEEE10hipError_tPvRmT0_T1_T2_T3_T4_T5_mmT6_P12ihipStream_tbEUlT_E0_NS1_11comp_targetILNS1_3genE2ELNS1_11target_archE906ELNS1_3gpuE6ELNS1_3repE0EEENS1_30default_config_static_selectorELNS0_4arch9wavefront6targetE1EEEvSP_, .Lfunc_end14-_ZN7rocprim17ROCPRIM_400000_NS6detail17trampoline_kernelINS0_14default_configENS1_21merge_config_selectorIiNS0_10empty_typeEEEZNS1_10merge_implIS3_N6thrust23THRUST_200600_302600_NS6detail15normal_iteratorINS9_10device_ptrIKiEEEESF_NSB_INSC_IiEEEEPS5_SI_SI_NS9_4lessIiEEEE10hipError_tPvRmT0_T1_T2_T3_T4_T5_mmT6_P12ihipStream_tbEUlT_E0_NS1_11comp_targetILNS1_3genE2ELNS1_11target_archE906ELNS1_3gpuE6ELNS1_3repE0EEENS1_30default_config_static_selectorELNS0_4arch9wavefront6targetE1EEEvSP_
                                        ; -- End function
	.set _ZN7rocprim17ROCPRIM_400000_NS6detail17trampoline_kernelINS0_14default_configENS1_21merge_config_selectorIiNS0_10empty_typeEEEZNS1_10merge_implIS3_N6thrust23THRUST_200600_302600_NS6detail15normal_iteratorINS9_10device_ptrIKiEEEESF_NSB_INSC_IiEEEEPS5_SI_SI_NS9_4lessIiEEEE10hipError_tPvRmT0_T1_T2_T3_T4_T5_mmT6_P12ihipStream_tbEUlT_E0_NS1_11comp_targetILNS1_3genE2ELNS1_11target_archE906ELNS1_3gpuE6ELNS1_3repE0EEENS1_30default_config_static_selectorELNS0_4arch9wavefront6targetE1EEEvSP_.num_vgpr, 0
	.set _ZN7rocprim17ROCPRIM_400000_NS6detail17trampoline_kernelINS0_14default_configENS1_21merge_config_selectorIiNS0_10empty_typeEEEZNS1_10merge_implIS3_N6thrust23THRUST_200600_302600_NS6detail15normal_iteratorINS9_10device_ptrIKiEEEESF_NSB_INSC_IiEEEEPS5_SI_SI_NS9_4lessIiEEEE10hipError_tPvRmT0_T1_T2_T3_T4_T5_mmT6_P12ihipStream_tbEUlT_E0_NS1_11comp_targetILNS1_3genE2ELNS1_11target_archE906ELNS1_3gpuE6ELNS1_3repE0EEENS1_30default_config_static_selectorELNS0_4arch9wavefront6targetE1EEEvSP_.num_agpr, 0
	.set _ZN7rocprim17ROCPRIM_400000_NS6detail17trampoline_kernelINS0_14default_configENS1_21merge_config_selectorIiNS0_10empty_typeEEEZNS1_10merge_implIS3_N6thrust23THRUST_200600_302600_NS6detail15normal_iteratorINS9_10device_ptrIKiEEEESF_NSB_INSC_IiEEEEPS5_SI_SI_NS9_4lessIiEEEE10hipError_tPvRmT0_T1_T2_T3_T4_T5_mmT6_P12ihipStream_tbEUlT_E0_NS1_11comp_targetILNS1_3genE2ELNS1_11target_archE906ELNS1_3gpuE6ELNS1_3repE0EEENS1_30default_config_static_selectorELNS0_4arch9wavefront6targetE1EEEvSP_.numbered_sgpr, 0
	.set _ZN7rocprim17ROCPRIM_400000_NS6detail17trampoline_kernelINS0_14default_configENS1_21merge_config_selectorIiNS0_10empty_typeEEEZNS1_10merge_implIS3_N6thrust23THRUST_200600_302600_NS6detail15normal_iteratorINS9_10device_ptrIKiEEEESF_NSB_INSC_IiEEEEPS5_SI_SI_NS9_4lessIiEEEE10hipError_tPvRmT0_T1_T2_T3_T4_T5_mmT6_P12ihipStream_tbEUlT_E0_NS1_11comp_targetILNS1_3genE2ELNS1_11target_archE906ELNS1_3gpuE6ELNS1_3repE0EEENS1_30default_config_static_selectorELNS0_4arch9wavefront6targetE1EEEvSP_.num_named_barrier, 0
	.set _ZN7rocprim17ROCPRIM_400000_NS6detail17trampoline_kernelINS0_14default_configENS1_21merge_config_selectorIiNS0_10empty_typeEEEZNS1_10merge_implIS3_N6thrust23THRUST_200600_302600_NS6detail15normal_iteratorINS9_10device_ptrIKiEEEESF_NSB_INSC_IiEEEEPS5_SI_SI_NS9_4lessIiEEEE10hipError_tPvRmT0_T1_T2_T3_T4_T5_mmT6_P12ihipStream_tbEUlT_E0_NS1_11comp_targetILNS1_3genE2ELNS1_11target_archE906ELNS1_3gpuE6ELNS1_3repE0EEENS1_30default_config_static_selectorELNS0_4arch9wavefront6targetE1EEEvSP_.private_seg_size, 0
	.set _ZN7rocprim17ROCPRIM_400000_NS6detail17trampoline_kernelINS0_14default_configENS1_21merge_config_selectorIiNS0_10empty_typeEEEZNS1_10merge_implIS3_N6thrust23THRUST_200600_302600_NS6detail15normal_iteratorINS9_10device_ptrIKiEEEESF_NSB_INSC_IiEEEEPS5_SI_SI_NS9_4lessIiEEEE10hipError_tPvRmT0_T1_T2_T3_T4_T5_mmT6_P12ihipStream_tbEUlT_E0_NS1_11comp_targetILNS1_3genE2ELNS1_11target_archE906ELNS1_3gpuE6ELNS1_3repE0EEENS1_30default_config_static_selectorELNS0_4arch9wavefront6targetE1EEEvSP_.uses_vcc, 0
	.set _ZN7rocprim17ROCPRIM_400000_NS6detail17trampoline_kernelINS0_14default_configENS1_21merge_config_selectorIiNS0_10empty_typeEEEZNS1_10merge_implIS3_N6thrust23THRUST_200600_302600_NS6detail15normal_iteratorINS9_10device_ptrIKiEEEESF_NSB_INSC_IiEEEEPS5_SI_SI_NS9_4lessIiEEEE10hipError_tPvRmT0_T1_T2_T3_T4_T5_mmT6_P12ihipStream_tbEUlT_E0_NS1_11comp_targetILNS1_3genE2ELNS1_11target_archE906ELNS1_3gpuE6ELNS1_3repE0EEENS1_30default_config_static_selectorELNS0_4arch9wavefront6targetE1EEEvSP_.uses_flat_scratch, 0
	.set _ZN7rocprim17ROCPRIM_400000_NS6detail17trampoline_kernelINS0_14default_configENS1_21merge_config_selectorIiNS0_10empty_typeEEEZNS1_10merge_implIS3_N6thrust23THRUST_200600_302600_NS6detail15normal_iteratorINS9_10device_ptrIKiEEEESF_NSB_INSC_IiEEEEPS5_SI_SI_NS9_4lessIiEEEE10hipError_tPvRmT0_T1_T2_T3_T4_T5_mmT6_P12ihipStream_tbEUlT_E0_NS1_11comp_targetILNS1_3genE2ELNS1_11target_archE906ELNS1_3gpuE6ELNS1_3repE0EEENS1_30default_config_static_selectorELNS0_4arch9wavefront6targetE1EEEvSP_.has_dyn_sized_stack, 0
	.set _ZN7rocprim17ROCPRIM_400000_NS6detail17trampoline_kernelINS0_14default_configENS1_21merge_config_selectorIiNS0_10empty_typeEEEZNS1_10merge_implIS3_N6thrust23THRUST_200600_302600_NS6detail15normal_iteratorINS9_10device_ptrIKiEEEESF_NSB_INSC_IiEEEEPS5_SI_SI_NS9_4lessIiEEEE10hipError_tPvRmT0_T1_T2_T3_T4_T5_mmT6_P12ihipStream_tbEUlT_E0_NS1_11comp_targetILNS1_3genE2ELNS1_11target_archE906ELNS1_3gpuE6ELNS1_3repE0EEENS1_30default_config_static_selectorELNS0_4arch9wavefront6targetE1EEEvSP_.has_recursion, 0
	.set _ZN7rocprim17ROCPRIM_400000_NS6detail17trampoline_kernelINS0_14default_configENS1_21merge_config_selectorIiNS0_10empty_typeEEEZNS1_10merge_implIS3_N6thrust23THRUST_200600_302600_NS6detail15normal_iteratorINS9_10device_ptrIKiEEEESF_NSB_INSC_IiEEEEPS5_SI_SI_NS9_4lessIiEEEE10hipError_tPvRmT0_T1_T2_T3_T4_T5_mmT6_P12ihipStream_tbEUlT_E0_NS1_11comp_targetILNS1_3genE2ELNS1_11target_archE906ELNS1_3gpuE6ELNS1_3repE0EEENS1_30default_config_static_selectorELNS0_4arch9wavefront6targetE1EEEvSP_.has_indirect_call, 0
	.section	.AMDGPU.csdata,"",@progbits
; Kernel info:
; codeLenInByte = 0
; TotalNumSgprs: 6
; NumVgprs: 0
; NumAgprs: 0
; TotalNumVgprs: 0
; ScratchSize: 0
; MemoryBound: 0
; FloatMode: 240
; IeeeMode: 1
; LDSByteSize: 0 bytes/workgroup (compile time only)
; SGPRBlocks: 0
; VGPRBlocks: 0
; NumSGPRsForWavesPerEU: 6
; NumVGPRsForWavesPerEU: 1
; AccumOffset: 4
; Occupancy: 8
; WaveLimiterHint : 0
; COMPUTE_PGM_RSRC2:SCRATCH_EN: 0
; COMPUTE_PGM_RSRC2:USER_SGPR: 2
; COMPUTE_PGM_RSRC2:TRAP_HANDLER: 0
; COMPUTE_PGM_RSRC2:TGID_X_EN: 1
; COMPUTE_PGM_RSRC2:TGID_Y_EN: 0
; COMPUTE_PGM_RSRC2:TGID_Z_EN: 0
; COMPUTE_PGM_RSRC2:TIDIG_COMP_CNT: 0
; COMPUTE_PGM_RSRC3_GFX90A:ACCUM_OFFSET: 0
; COMPUTE_PGM_RSRC3_GFX90A:TG_SPLIT: 0
	.section	.text._ZN7rocprim17ROCPRIM_400000_NS6detail17trampoline_kernelINS0_14default_configENS1_21merge_config_selectorIiNS0_10empty_typeEEEZNS1_10merge_implIS3_N6thrust23THRUST_200600_302600_NS6detail15normal_iteratorINS9_10device_ptrIKiEEEESF_NSB_INSC_IiEEEEPS5_SI_SI_NS9_4lessIiEEEE10hipError_tPvRmT0_T1_T2_T3_T4_T5_mmT6_P12ihipStream_tbEUlT_E0_NS1_11comp_targetILNS1_3genE10ELNS1_11target_archE1201ELNS1_3gpuE5ELNS1_3repE0EEENS1_30default_config_static_selectorELNS0_4arch9wavefront6targetE1EEEvSP_,"axG",@progbits,_ZN7rocprim17ROCPRIM_400000_NS6detail17trampoline_kernelINS0_14default_configENS1_21merge_config_selectorIiNS0_10empty_typeEEEZNS1_10merge_implIS3_N6thrust23THRUST_200600_302600_NS6detail15normal_iteratorINS9_10device_ptrIKiEEEESF_NSB_INSC_IiEEEEPS5_SI_SI_NS9_4lessIiEEEE10hipError_tPvRmT0_T1_T2_T3_T4_T5_mmT6_P12ihipStream_tbEUlT_E0_NS1_11comp_targetILNS1_3genE10ELNS1_11target_archE1201ELNS1_3gpuE5ELNS1_3repE0EEENS1_30default_config_static_selectorELNS0_4arch9wavefront6targetE1EEEvSP_,comdat
	.protected	_ZN7rocprim17ROCPRIM_400000_NS6detail17trampoline_kernelINS0_14default_configENS1_21merge_config_selectorIiNS0_10empty_typeEEEZNS1_10merge_implIS3_N6thrust23THRUST_200600_302600_NS6detail15normal_iteratorINS9_10device_ptrIKiEEEESF_NSB_INSC_IiEEEEPS5_SI_SI_NS9_4lessIiEEEE10hipError_tPvRmT0_T1_T2_T3_T4_T5_mmT6_P12ihipStream_tbEUlT_E0_NS1_11comp_targetILNS1_3genE10ELNS1_11target_archE1201ELNS1_3gpuE5ELNS1_3repE0EEENS1_30default_config_static_selectorELNS0_4arch9wavefront6targetE1EEEvSP_ ; -- Begin function _ZN7rocprim17ROCPRIM_400000_NS6detail17trampoline_kernelINS0_14default_configENS1_21merge_config_selectorIiNS0_10empty_typeEEEZNS1_10merge_implIS3_N6thrust23THRUST_200600_302600_NS6detail15normal_iteratorINS9_10device_ptrIKiEEEESF_NSB_INSC_IiEEEEPS5_SI_SI_NS9_4lessIiEEEE10hipError_tPvRmT0_T1_T2_T3_T4_T5_mmT6_P12ihipStream_tbEUlT_E0_NS1_11comp_targetILNS1_3genE10ELNS1_11target_archE1201ELNS1_3gpuE5ELNS1_3repE0EEENS1_30default_config_static_selectorELNS0_4arch9wavefront6targetE1EEEvSP_
	.globl	_ZN7rocprim17ROCPRIM_400000_NS6detail17trampoline_kernelINS0_14default_configENS1_21merge_config_selectorIiNS0_10empty_typeEEEZNS1_10merge_implIS3_N6thrust23THRUST_200600_302600_NS6detail15normal_iteratorINS9_10device_ptrIKiEEEESF_NSB_INSC_IiEEEEPS5_SI_SI_NS9_4lessIiEEEE10hipError_tPvRmT0_T1_T2_T3_T4_T5_mmT6_P12ihipStream_tbEUlT_E0_NS1_11comp_targetILNS1_3genE10ELNS1_11target_archE1201ELNS1_3gpuE5ELNS1_3repE0EEENS1_30default_config_static_selectorELNS0_4arch9wavefront6targetE1EEEvSP_
	.p2align	8
	.type	_ZN7rocprim17ROCPRIM_400000_NS6detail17trampoline_kernelINS0_14default_configENS1_21merge_config_selectorIiNS0_10empty_typeEEEZNS1_10merge_implIS3_N6thrust23THRUST_200600_302600_NS6detail15normal_iteratorINS9_10device_ptrIKiEEEESF_NSB_INSC_IiEEEEPS5_SI_SI_NS9_4lessIiEEEE10hipError_tPvRmT0_T1_T2_T3_T4_T5_mmT6_P12ihipStream_tbEUlT_E0_NS1_11comp_targetILNS1_3genE10ELNS1_11target_archE1201ELNS1_3gpuE5ELNS1_3repE0EEENS1_30default_config_static_selectorELNS0_4arch9wavefront6targetE1EEEvSP_,@function
_ZN7rocprim17ROCPRIM_400000_NS6detail17trampoline_kernelINS0_14default_configENS1_21merge_config_selectorIiNS0_10empty_typeEEEZNS1_10merge_implIS3_N6thrust23THRUST_200600_302600_NS6detail15normal_iteratorINS9_10device_ptrIKiEEEESF_NSB_INSC_IiEEEEPS5_SI_SI_NS9_4lessIiEEEE10hipError_tPvRmT0_T1_T2_T3_T4_T5_mmT6_P12ihipStream_tbEUlT_E0_NS1_11comp_targetILNS1_3genE10ELNS1_11target_archE1201ELNS1_3gpuE5ELNS1_3repE0EEENS1_30default_config_static_selectorELNS0_4arch9wavefront6targetE1EEEvSP_: ; @_ZN7rocprim17ROCPRIM_400000_NS6detail17trampoline_kernelINS0_14default_configENS1_21merge_config_selectorIiNS0_10empty_typeEEEZNS1_10merge_implIS3_N6thrust23THRUST_200600_302600_NS6detail15normal_iteratorINS9_10device_ptrIKiEEEESF_NSB_INSC_IiEEEEPS5_SI_SI_NS9_4lessIiEEEE10hipError_tPvRmT0_T1_T2_T3_T4_T5_mmT6_P12ihipStream_tbEUlT_E0_NS1_11comp_targetILNS1_3genE10ELNS1_11target_archE1201ELNS1_3gpuE5ELNS1_3repE0EEENS1_30default_config_static_selectorELNS0_4arch9wavefront6targetE1EEEvSP_
; %bb.0:
	.section	.rodata,"a",@progbits
	.p2align	6, 0x0
	.amdhsa_kernel _ZN7rocprim17ROCPRIM_400000_NS6detail17trampoline_kernelINS0_14default_configENS1_21merge_config_selectorIiNS0_10empty_typeEEEZNS1_10merge_implIS3_N6thrust23THRUST_200600_302600_NS6detail15normal_iteratorINS9_10device_ptrIKiEEEESF_NSB_INSC_IiEEEEPS5_SI_SI_NS9_4lessIiEEEE10hipError_tPvRmT0_T1_T2_T3_T4_T5_mmT6_P12ihipStream_tbEUlT_E0_NS1_11comp_targetILNS1_3genE10ELNS1_11target_archE1201ELNS1_3gpuE5ELNS1_3repE0EEENS1_30default_config_static_selectorELNS0_4arch9wavefront6targetE1EEEvSP_
		.amdhsa_group_segment_fixed_size 0
		.amdhsa_private_segment_fixed_size 0
		.amdhsa_kernarg_size 88
		.amdhsa_user_sgpr_count 2
		.amdhsa_user_sgpr_dispatch_ptr 0
		.amdhsa_user_sgpr_queue_ptr 0
		.amdhsa_user_sgpr_kernarg_segment_ptr 1
		.amdhsa_user_sgpr_dispatch_id 0
		.amdhsa_user_sgpr_kernarg_preload_length 0
		.amdhsa_user_sgpr_kernarg_preload_offset 0
		.amdhsa_user_sgpr_private_segment_size 0
		.amdhsa_uses_dynamic_stack 0
		.amdhsa_enable_private_segment 0
		.amdhsa_system_sgpr_workgroup_id_x 1
		.amdhsa_system_sgpr_workgroup_id_y 0
		.amdhsa_system_sgpr_workgroup_id_z 0
		.amdhsa_system_sgpr_workgroup_info 0
		.amdhsa_system_vgpr_workitem_id 0
		.amdhsa_next_free_vgpr 1
		.amdhsa_next_free_sgpr 0
		.amdhsa_accum_offset 4
		.amdhsa_reserve_vcc 0
		.amdhsa_float_round_mode_32 0
		.amdhsa_float_round_mode_16_64 0
		.amdhsa_float_denorm_mode_32 3
		.amdhsa_float_denorm_mode_16_64 3
		.amdhsa_dx10_clamp 1
		.amdhsa_ieee_mode 1
		.amdhsa_fp16_overflow 0
		.amdhsa_tg_split 0
		.amdhsa_exception_fp_ieee_invalid_op 0
		.amdhsa_exception_fp_denorm_src 0
		.amdhsa_exception_fp_ieee_div_zero 0
		.amdhsa_exception_fp_ieee_overflow 0
		.amdhsa_exception_fp_ieee_underflow 0
		.amdhsa_exception_fp_ieee_inexact 0
		.amdhsa_exception_int_div_zero 0
	.end_amdhsa_kernel
	.section	.text._ZN7rocprim17ROCPRIM_400000_NS6detail17trampoline_kernelINS0_14default_configENS1_21merge_config_selectorIiNS0_10empty_typeEEEZNS1_10merge_implIS3_N6thrust23THRUST_200600_302600_NS6detail15normal_iteratorINS9_10device_ptrIKiEEEESF_NSB_INSC_IiEEEEPS5_SI_SI_NS9_4lessIiEEEE10hipError_tPvRmT0_T1_T2_T3_T4_T5_mmT6_P12ihipStream_tbEUlT_E0_NS1_11comp_targetILNS1_3genE10ELNS1_11target_archE1201ELNS1_3gpuE5ELNS1_3repE0EEENS1_30default_config_static_selectorELNS0_4arch9wavefront6targetE1EEEvSP_,"axG",@progbits,_ZN7rocprim17ROCPRIM_400000_NS6detail17trampoline_kernelINS0_14default_configENS1_21merge_config_selectorIiNS0_10empty_typeEEEZNS1_10merge_implIS3_N6thrust23THRUST_200600_302600_NS6detail15normal_iteratorINS9_10device_ptrIKiEEEESF_NSB_INSC_IiEEEEPS5_SI_SI_NS9_4lessIiEEEE10hipError_tPvRmT0_T1_T2_T3_T4_T5_mmT6_P12ihipStream_tbEUlT_E0_NS1_11comp_targetILNS1_3genE10ELNS1_11target_archE1201ELNS1_3gpuE5ELNS1_3repE0EEENS1_30default_config_static_selectorELNS0_4arch9wavefront6targetE1EEEvSP_,comdat
.Lfunc_end15:
	.size	_ZN7rocprim17ROCPRIM_400000_NS6detail17trampoline_kernelINS0_14default_configENS1_21merge_config_selectorIiNS0_10empty_typeEEEZNS1_10merge_implIS3_N6thrust23THRUST_200600_302600_NS6detail15normal_iteratorINS9_10device_ptrIKiEEEESF_NSB_INSC_IiEEEEPS5_SI_SI_NS9_4lessIiEEEE10hipError_tPvRmT0_T1_T2_T3_T4_T5_mmT6_P12ihipStream_tbEUlT_E0_NS1_11comp_targetILNS1_3genE10ELNS1_11target_archE1201ELNS1_3gpuE5ELNS1_3repE0EEENS1_30default_config_static_selectorELNS0_4arch9wavefront6targetE1EEEvSP_, .Lfunc_end15-_ZN7rocprim17ROCPRIM_400000_NS6detail17trampoline_kernelINS0_14default_configENS1_21merge_config_selectorIiNS0_10empty_typeEEEZNS1_10merge_implIS3_N6thrust23THRUST_200600_302600_NS6detail15normal_iteratorINS9_10device_ptrIKiEEEESF_NSB_INSC_IiEEEEPS5_SI_SI_NS9_4lessIiEEEE10hipError_tPvRmT0_T1_T2_T3_T4_T5_mmT6_P12ihipStream_tbEUlT_E0_NS1_11comp_targetILNS1_3genE10ELNS1_11target_archE1201ELNS1_3gpuE5ELNS1_3repE0EEENS1_30default_config_static_selectorELNS0_4arch9wavefront6targetE1EEEvSP_
                                        ; -- End function
	.set _ZN7rocprim17ROCPRIM_400000_NS6detail17trampoline_kernelINS0_14default_configENS1_21merge_config_selectorIiNS0_10empty_typeEEEZNS1_10merge_implIS3_N6thrust23THRUST_200600_302600_NS6detail15normal_iteratorINS9_10device_ptrIKiEEEESF_NSB_INSC_IiEEEEPS5_SI_SI_NS9_4lessIiEEEE10hipError_tPvRmT0_T1_T2_T3_T4_T5_mmT6_P12ihipStream_tbEUlT_E0_NS1_11comp_targetILNS1_3genE10ELNS1_11target_archE1201ELNS1_3gpuE5ELNS1_3repE0EEENS1_30default_config_static_selectorELNS0_4arch9wavefront6targetE1EEEvSP_.num_vgpr, 0
	.set _ZN7rocprim17ROCPRIM_400000_NS6detail17trampoline_kernelINS0_14default_configENS1_21merge_config_selectorIiNS0_10empty_typeEEEZNS1_10merge_implIS3_N6thrust23THRUST_200600_302600_NS6detail15normal_iteratorINS9_10device_ptrIKiEEEESF_NSB_INSC_IiEEEEPS5_SI_SI_NS9_4lessIiEEEE10hipError_tPvRmT0_T1_T2_T3_T4_T5_mmT6_P12ihipStream_tbEUlT_E0_NS1_11comp_targetILNS1_3genE10ELNS1_11target_archE1201ELNS1_3gpuE5ELNS1_3repE0EEENS1_30default_config_static_selectorELNS0_4arch9wavefront6targetE1EEEvSP_.num_agpr, 0
	.set _ZN7rocprim17ROCPRIM_400000_NS6detail17trampoline_kernelINS0_14default_configENS1_21merge_config_selectorIiNS0_10empty_typeEEEZNS1_10merge_implIS3_N6thrust23THRUST_200600_302600_NS6detail15normal_iteratorINS9_10device_ptrIKiEEEESF_NSB_INSC_IiEEEEPS5_SI_SI_NS9_4lessIiEEEE10hipError_tPvRmT0_T1_T2_T3_T4_T5_mmT6_P12ihipStream_tbEUlT_E0_NS1_11comp_targetILNS1_3genE10ELNS1_11target_archE1201ELNS1_3gpuE5ELNS1_3repE0EEENS1_30default_config_static_selectorELNS0_4arch9wavefront6targetE1EEEvSP_.numbered_sgpr, 0
	.set _ZN7rocprim17ROCPRIM_400000_NS6detail17trampoline_kernelINS0_14default_configENS1_21merge_config_selectorIiNS0_10empty_typeEEEZNS1_10merge_implIS3_N6thrust23THRUST_200600_302600_NS6detail15normal_iteratorINS9_10device_ptrIKiEEEESF_NSB_INSC_IiEEEEPS5_SI_SI_NS9_4lessIiEEEE10hipError_tPvRmT0_T1_T2_T3_T4_T5_mmT6_P12ihipStream_tbEUlT_E0_NS1_11comp_targetILNS1_3genE10ELNS1_11target_archE1201ELNS1_3gpuE5ELNS1_3repE0EEENS1_30default_config_static_selectorELNS0_4arch9wavefront6targetE1EEEvSP_.num_named_barrier, 0
	.set _ZN7rocprim17ROCPRIM_400000_NS6detail17trampoline_kernelINS0_14default_configENS1_21merge_config_selectorIiNS0_10empty_typeEEEZNS1_10merge_implIS3_N6thrust23THRUST_200600_302600_NS6detail15normal_iteratorINS9_10device_ptrIKiEEEESF_NSB_INSC_IiEEEEPS5_SI_SI_NS9_4lessIiEEEE10hipError_tPvRmT0_T1_T2_T3_T4_T5_mmT6_P12ihipStream_tbEUlT_E0_NS1_11comp_targetILNS1_3genE10ELNS1_11target_archE1201ELNS1_3gpuE5ELNS1_3repE0EEENS1_30default_config_static_selectorELNS0_4arch9wavefront6targetE1EEEvSP_.private_seg_size, 0
	.set _ZN7rocprim17ROCPRIM_400000_NS6detail17trampoline_kernelINS0_14default_configENS1_21merge_config_selectorIiNS0_10empty_typeEEEZNS1_10merge_implIS3_N6thrust23THRUST_200600_302600_NS6detail15normal_iteratorINS9_10device_ptrIKiEEEESF_NSB_INSC_IiEEEEPS5_SI_SI_NS9_4lessIiEEEE10hipError_tPvRmT0_T1_T2_T3_T4_T5_mmT6_P12ihipStream_tbEUlT_E0_NS1_11comp_targetILNS1_3genE10ELNS1_11target_archE1201ELNS1_3gpuE5ELNS1_3repE0EEENS1_30default_config_static_selectorELNS0_4arch9wavefront6targetE1EEEvSP_.uses_vcc, 0
	.set _ZN7rocprim17ROCPRIM_400000_NS6detail17trampoline_kernelINS0_14default_configENS1_21merge_config_selectorIiNS0_10empty_typeEEEZNS1_10merge_implIS3_N6thrust23THRUST_200600_302600_NS6detail15normal_iteratorINS9_10device_ptrIKiEEEESF_NSB_INSC_IiEEEEPS5_SI_SI_NS9_4lessIiEEEE10hipError_tPvRmT0_T1_T2_T3_T4_T5_mmT6_P12ihipStream_tbEUlT_E0_NS1_11comp_targetILNS1_3genE10ELNS1_11target_archE1201ELNS1_3gpuE5ELNS1_3repE0EEENS1_30default_config_static_selectorELNS0_4arch9wavefront6targetE1EEEvSP_.uses_flat_scratch, 0
	.set _ZN7rocprim17ROCPRIM_400000_NS6detail17trampoline_kernelINS0_14default_configENS1_21merge_config_selectorIiNS0_10empty_typeEEEZNS1_10merge_implIS3_N6thrust23THRUST_200600_302600_NS6detail15normal_iteratorINS9_10device_ptrIKiEEEESF_NSB_INSC_IiEEEEPS5_SI_SI_NS9_4lessIiEEEE10hipError_tPvRmT0_T1_T2_T3_T4_T5_mmT6_P12ihipStream_tbEUlT_E0_NS1_11comp_targetILNS1_3genE10ELNS1_11target_archE1201ELNS1_3gpuE5ELNS1_3repE0EEENS1_30default_config_static_selectorELNS0_4arch9wavefront6targetE1EEEvSP_.has_dyn_sized_stack, 0
	.set _ZN7rocprim17ROCPRIM_400000_NS6detail17trampoline_kernelINS0_14default_configENS1_21merge_config_selectorIiNS0_10empty_typeEEEZNS1_10merge_implIS3_N6thrust23THRUST_200600_302600_NS6detail15normal_iteratorINS9_10device_ptrIKiEEEESF_NSB_INSC_IiEEEEPS5_SI_SI_NS9_4lessIiEEEE10hipError_tPvRmT0_T1_T2_T3_T4_T5_mmT6_P12ihipStream_tbEUlT_E0_NS1_11comp_targetILNS1_3genE10ELNS1_11target_archE1201ELNS1_3gpuE5ELNS1_3repE0EEENS1_30default_config_static_selectorELNS0_4arch9wavefront6targetE1EEEvSP_.has_recursion, 0
	.set _ZN7rocprim17ROCPRIM_400000_NS6detail17trampoline_kernelINS0_14default_configENS1_21merge_config_selectorIiNS0_10empty_typeEEEZNS1_10merge_implIS3_N6thrust23THRUST_200600_302600_NS6detail15normal_iteratorINS9_10device_ptrIKiEEEESF_NSB_INSC_IiEEEEPS5_SI_SI_NS9_4lessIiEEEE10hipError_tPvRmT0_T1_T2_T3_T4_T5_mmT6_P12ihipStream_tbEUlT_E0_NS1_11comp_targetILNS1_3genE10ELNS1_11target_archE1201ELNS1_3gpuE5ELNS1_3repE0EEENS1_30default_config_static_selectorELNS0_4arch9wavefront6targetE1EEEvSP_.has_indirect_call, 0
	.section	.AMDGPU.csdata,"",@progbits
; Kernel info:
; codeLenInByte = 0
; TotalNumSgprs: 6
; NumVgprs: 0
; NumAgprs: 0
; TotalNumVgprs: 0
; ScratchSize: 0
; MemoryBound: 0
; FloatMode: 240
; IeeeMode: 1
; LDSByteSize: 0 bytes/workgroup (compile time only)
; SGPRBlocks: 0
; VGPRBlocks: 0
; NumSGPRsForWavesPerEU: 6
; NumVGPRsForWavesPerEU: 1
; AccumOffset: 4
; Occupancy: 8
; WaveLimiterHint : 0
; COMPUTE_PGM_RSRC2:SCRATCH_EN: 0
; COMPUTE_PGM_RSRC2:USER_SGPR: 2
; COMPUTE_PGM_RSRC2:TRAP_HANDLER: 0
; COMPUTE_PGM_RSRC2:TGID_X_EN: 1
; COMPUTE_PGM_RSRC2:TGID_Y_EN: 0
; COMPUTE_PGM_RSRC2:TGID_Z_EN: 0
; COMPUTE_PGM_RSRC2:TIDIG_COMP_CNT: 0
; COMPUTE_PGM_RSRC3_GFX90A:ACCUM_OFFSET: 0
; COMPUTE_PGM_RSRC3_GFX90A:TG_SPLIT: 0
	.section	.text._ZN7rocprim17ROCPRIM_400000_NS6detail17trampoline_kernelINS0_14default_configENS1_21merge_config_selectorIiNS0_10empty_typeEEEZNS1_10merge_implIS3_N6thrust23THRUST_200600_302600_NS6detail15normal_iteratorINS9_10device_ptrIKiEEEESF_NSB_INSC_IiEEEEPS5_SI_SI_NS9_4lessIiEEEE10hipError_tPvRmT0_T1_T2_T3_T4_T5_mmT6_P12ihipStream_tbEUlT_E0_NS1_11comp_targetILNS1_3genE10ELNS1_11target_archE1200ELNS1_3gpuE4ELNS1_3repE0EEENS1_30default_config_static_selectorELNS0_4arch9wavefront6targetE1EEEvSP_,"axG",@progbits,_ZN7rocprim17ROCPRIM_400000_NS6detail17trampoline_kernelINS0_14default_configENS1_21merge_config_selectorIiNS0_10empty_typeEEEZNS1_10merge_implIS3_N6thrust23THRUST_200600_302600_NS6detail15normal_iteratorINS9_10device_ptrIKiEEEESF_NSB_INSC_IiEEEEPS5_SI_SI_NS9_4lessIiEEEE10hipError_tPvRmT0_T1_T2_T3_T4_T5_mmT6_P12ihipStream_tbEUlT_E0_NS1_11comp_targetILNS1_3genE10ELNS1_11target_archE1200ELNS1_3gpuE4ELNS1_3repE0EEENS1_30default_config_static_selectorELNS0_4arch9wavefront6targetE1EEEvSP_,comdat
	.protected	_ZN7rocprim17ROCPRIM_400000_NS6detail17trampoline_kernelINS0_14default_configENS1_21merge_config_selectorIiNS0_10empty_typeEEEZNS1_10merge_implIS3_N6thrust23THRUST_200600_302600_NS6detail15normal_iteratorINS9_10device_ptrIKiEEEESF_NSB_INSC_IiEEEEPS5_SI_SI_NS9_4lessIiEEEE10hipError_tPvRmT0_T1_T2_T3_T4_T5_mmT6_P12ihipStream_tbEUlT_E0_NS1_11comp_targetILNS1_3genE10ELNS1_11target_archE1200ELNS1_3gpuE4ELNS1_3repE0EEENS1_30default_config_static_selectorELNS0_4arch9wavefront6targetE1EEEvSP_ ; -- Begin function _ZN7rocprim17ROCPRIM_400000_NS6detail17trampoline_kernelINS0_14default_configENS1_21merge_config_selectorIiNS0_10empty_typeEEEZNS1_10merge_implIS3_N6thrust23THRUST_200600_302600_NS6detail15normal_iteratorINS9_10device_ptrIKiEEEESF_NSB_INSC_IiEEEEPS5_SI_SI_NS9_4lessIiEEEE10hipError_tPvRmT0_T1_T2_T3_T4_T5_mmT6_P12ihipStream_tbEUlT_E0_NS1_11comp_targetILNS1_3genE10ELNS1_11target_archE1200ELNS1_3gpuE4ELNS1_3repE0EEENS1_30default_config_static_selectorELNS0_4arch9wavefront6targetE1EEEvSP_
	.globl	_ZN7rocprim17ROCPRIM_400000_NS6detail17trampoline_kernelINS0_14default_configENS1_21merge_config_selectorIiNS0_10empty_typeEEEZNS1_10merge_implIS3_N6thrust23THRUST_200600_302600_NS6detail15normal_iteratorINS9_10device_ptrIKiEEEESF_NSB_INSC_IiEEEEPS5_SI_SI_NS9_4lessIiEEEE10hipError_tPvRmT0_T1_T2_T3_T4_T5_mmT6_P12ihipStream_tbEUlT_E0_NS1_11comp_targetILNS1_3genE10ELNS1_11target_archE1200ELNS1_3gpuE4ELNS1_3repE0EEENS1_30default_config_static_selectorELNS0_4arch9wavefront6targetE1EEEvSP_
	.p2align	8
	.type	_ZN7rocprim17ROCPRIM_400000_NS6detail17trampoline_kernelINS0_14default_configENS1_21merge_config_selectorIiNS0_10empty_typeEEEZNS1_10merge_implIS3_N6thrust23THRUST_200600_302600_NS6detail15normal_iteratorINS9_10device_ptrIKiEEEESF_NSB_INSC_IiEEEEPS5_SI_SI_NS9_4lessIiEEEE10hipError_tPvRmT0_T1_T2_T3_T4_T5_mmT6_P12ihipStream_tbEUlT_E0_NS1_11comp_targetILNS1_3genE10ELNS1_11target_archE1200ELNS1_3gpuE4ELNS1_3repE0EEENS1_30default_config_static_selectorELNS0_4arch9wavefront6targetE1EEEvSP_,@function
_ZN7rocprim17ROCPRIM_400000_NS6detail17trampoline_kernelINS0_14default_configENS1_21merge_config_selectorIiNS0_10empty_typeEEEZNS1_10merge_implIS3_N6thrust23THRUST_200600_302600_NS6detail15normal_iteratorINS9_10device_ptrIKiEEEESF_NSB_INSC_IiEEEEPS5_SI_SI_NS9_4lessIiEEEE10hipError_tPvRmT0_T1_T2_T3_T4_T5_mmT6_P12ihipStream_tbEUlT_E0_NS1_11comp_targetILNS1_3genE10ELNS1_11target_archE1200ELNS1_3gpuE4ELNS1_3repE0EEENS1_30default_config_static_selectorELNS0_4arch9wavefront6targetE1EEEvSP_: ; @_ZN7rocprim17ROCPRIM_400000_NS6detail17trampoline_kernelINS0_14default_configENS1_21merge_config_selectorIiNS0_10empty_typeEEEZNS1_10merge_implIS3_N6thrust23THRUST_200600_302600_NS6detail15normal_iteratorINS9_10device_ptrIKiEEEESF_NSB_INSC_IiEEEEPS5_SI_SI_NS9_4lessIiEEEE10hipError_tPvRmT0_T1_T2_T3_T4_T5_mmT6_P12ihipStream_tbEUlT_E0_NS1_11comp_targetILNS1_3genE10ELNS1_11target_archE1200ELNS1_3gpuE4ELNS1_3repE0EEENS1_30default_config_static_selectorELNS0_4arch9wavefront6targetE1EEEvSP_
; %bb.0:
	.section	.rodata,"a",@progbits
	.p2align	6, 0x0
	.amdhsa_kernel _ZN7rocprim17ROCPRIM_400000_NS6detail17trampoline_kernelINS0_14default_configENS1_21merge_config_selectorIiNS0_10empty_typeEEEZNS1_10merge_implIS3_N6thrust23THRUST_200600_302600_NS6detail15normal_iteratorINS9_10device_ptrIKiEEEESF_NSB_INSC_IiEEEEPS5_SI_SI_NS9_4lessIiEEEE10hipError_tPvRmT0_T1_T2_T3_T4_T5_mmT6_P12ihipStream_tbEUlT_E0_NS1_11comp_targetILNS1_3genE10ELNS1_11target_archE1200ELNS1_3gpuE4ELNS1_3repE0EEENS1_30default_config_static_selectorELNS0_4arch9wavefront6targetE1EEEvSP_
		.amdhsa_group_segment_fixed_size 0
		.amdhsa_private_segment_fixed_size 0
		.amdhsa_kernarg_size 88
		.amdhsa_user_sgpr_count 2
		.amdhsa_user_sgpr_dispatch_ptr 0
		.amdhsa_user_sgpr_queue_ptr 0
		.amdhsa_user_sgpr_kernarg_segment_ptr 1
		.amdhsa_user_sgpr_dispatch_id 0
		.amdhsa_user_sgpr_kernarg_preload_length 0
		.amdhsa_user_sgpr_kernarg_preload_offset 0
		.amdhsa_user_sgpr_private_segment_size 0
		.amdhsa_uses_dynamic_stack 0
		.amdhsa_enable_private_segment 0
		.amdhsa_system_sgpr_workgroup_id_x 1
		.amdhsa_system_sgpr_workgroup_id_y 0
		.amdhsa_system_sgpr_workgroup_id_z 0
		.amdhsa_system_sgpr_workgroup_info 0
		.amdhsa_system_vgpr_workitem_id 0
		.amdhsa_next_free_vgpr 1
		.amdhsa_next_free_sgpr 0
		.amdhsa_accum_offset 4
		.amdhsa_reserve_vcc 0
		.amdhsa_float_round_mode_32 0
		.amdhsa_float_round_mode_16_64 0
		.amdhsa_float_denorm_mode_32 3
		.amdhsa_float_denorm_mode_16_64 3
		.amdhsa_dx10_clamp 1
		.amdhsa_ieee_mode 1
		.amdhsa_fp16_overflow 0
		.amdhsa_tg_split 0
		.amdhsa_exception_fp_ieee_invalid_op 0
		.amdhsa_exception_fp_denorm_src 0
		.amdhsa_exception_fp_ieee_div_zero 0
		.amdhsa_exception_fp_ieee_overflow 0
		.amdhsa_exception_fp_ieee_underflow 0
		.amdhsa_exception_fp_ieee_inexact 0
		.amdhsa_exception_int_div_zero 0
	.end_amdhsa_kernel
	.section	.text._ZN7rocprim17ROCPRIM_400000_NS6detail17trampoline_kernelINS0_14default_configENS1_21merge_config_selectorIiNS0_10empty_typeEEEZNS1_10merge_implIS3_N6thrust23THRUST_200600_302600_NS6detail15normal_iteratorINS9_10device_ptrIKiEEEESF_NSB_INSC_IiEEEEPS5_SI_SI_NS9_4lessIiEEEE10hipError_tPvRmT0_T1_T2_T3_T4_T5_mmT6_P12ihipStream_tbEUlT_E0_NS1_11comp_targetILNS1_3genE10ELNS1_11target_archE1200ELNS1_3gpuE4ELNS1_3repE0EEENS1_30default_config_static_selectorELNS0_4arch9wavefront6targetE1EEEvSP_,"axG",@progbits,_ZN7rocprim17ROCPRIM_400000_NS6detail17trampoline_kernelINS0_14default_configENS1_21merge_config_selectorIiNS0_10empty_typeEEEZNS1_10merge_implIS3_N6thrust23THRUST_200600_302600_NS6detail15normal_iteratorINS9_10device_ptrIKiEEEESF_NSB_INSC_IiEEEEPS5_SI_SI_NS9_4lessIiEEEE10hipError_tPvRmT0_T1_T2_T3_T4_T5_mmT6_P12ihipStream_tbEUlT_E0_NS1_11comp_targetILNS1_3genE10ELNS1_11target_archE1200ELNS1_3gpuE4ELNS1_3repE0EEENS1_30default_config_static_selectorELNS0_4arch9wavefront6targetE1EEEvSP_,comdat
.Lfunc_end16:
	.size	_ZN7rocprim17ROCPRIM_400000_NS6detail17trampoline_kernelINS0_14default_configENS1_21merge_config_selectorIiNS0_10empty_typeEEEZNS1_10merge_implIS3_N6thrust23THRUST_200600_302600_NS6detail15normal_iteratorINS9_10device_ptrIKiEEEESF_NSB_INSC_IiEEEEPS5_SI_SI_NS9_4lessIiEEEE10hipError_tPvRmT0_T1_T2_T3_T4_T5_mmT6_P12ihipStream_tbEUlT_E0_NS1_11comp_targetILNS1_3genE10ELNS1_11target_archE1200ELNS1_3gpuE4ELNS1_3repE0EEENS1_30default_config_static_selectorELNS0_4arch9wavefront6targetE1EEEvSP_, .Lfunc_end16-_ZN7rocprim17ROCPRIM_400000_NS6detail17trampoline_kernelINS0_14default_configENS1_21merge_config_selectorIiNS0_10empty_typeEEEZNS1_10merge_implIS3_N6thrust23THRUST_200600_302600_NS6detail15normal_iteratorINS9_10device_ptrIKiEEEESF_NSB_INSC_IiEEEEPS5_SI_SI_NS9_4lessIiEEEE10hipError_tPvRmT0_T1_T2_T3_T4_T5_mmT6_P12ihipStream_tbEUlT_E0_NS1_11comp_targetILNS1_3genE10ELNS1_11target_archE1200ELNS1_3gpuE4ELNS1_3repE0EEENS1_30default_config_static_selectorELNS0_4arch9wavefront6targetE1EEEvSP_
                                        ; -- End function
	.set _ZN7rocprim17ROCPRIM_400000_NS6detail17trampoline_kernelINS0_14default_configENS1_21merge_config_selectorIiNS0_10empty_typeEEEZNS1_10merge_implIS3_N6thrust23THRUST_200600_302600_NS6detail15normal_iteratorINS9_10device_ptrIKiEEEESF_NSB_INSC_IiEEEEPS5_SI_SI_NS9_4lessIiEEEE10hipError_tPvRmT0_T1_T2_T3_T4_T5_mmT6_P12ihipStream_tbEUlT_E0_NS1_11comp_targetILNS1_3genE10ELNS1_11target_archE1200ELNS1_3gpuE4ELNS1_3repE0EEENS1_30default_config_static_selectorELNS0_4arch9wavefront6targetE1EEEvSP_.num_vgpr, 0
	.set _ZN7rocprim17ROCPRIM_400000_NS6detail17trampoline_kernelINS0_14default_configENS1_21merge_config_selectorIiNS0_10empty_typeEEEZNS1_10merge_implIS3_N6thrust23THRUST_200600_302600_NS6detail15normal_iteratorINS9_10device_ptrIKiEEEESF_NSB_INSC_IiEEEEPS5_SI_SI_NS9_4lessIiEEEE10hipError_tPvRmT0_T1_T2_T3_T4_T5_mmT6_P12ihipStream_tbEUlT_E0_NS1_11comp_targetILNS1_3genE10ELNS1_11target_archE1200ELNS1_3gpuE4ELNS1_3repE0EEENS1_30default_config_static_selectorELNS0_4arch9wavefront6targetE1EEEvSP_.num_agpr, 0
	.set _ZN7rocprim17ROCPRIM_400000_NS6detail17trampoline_kernelINS0_14default_configENS1_21merge_config_selectorIiNS0_10empty_typeEEEZNS1_10merge_implIS3_N6thrust23THRUST_200600_302600_NS6detail15normal_iteratorINS9_10device_ptrIKiEEEESF_NSB_INSC_IiEEEEPS5_SI_SI_NS9_4lessIiEEEE10hipError_tPvRmT0_T1_T2_T3_T4_T5_mmT6_P12ihipStream_tbEUlT_E0_NS1_11comp_targetILNS1_3genE10ELNS1_11target_archE1200ELNS1_3gpuE4ELNS1_3repE0EEENS1_30default_config_static_selectorELNS0_4arch9wavefront6targetE1EEEvSP_.numbered_sgpr, 0
	.set _ZN7rocprim17ROCPRIM_400000_NS6detail17trampoline_kernelINS0_14default_configENS1_21merge_config_selectorIiNS0_10empty_typeEEEZNS1_10merge_implIS3_N6thrust23THRUST_200600_302600_NS6detail15normal_iteratorINS9_10device_ptrIKiEEEESF_NSB_INSC_IiEEEEPS5_SI_SI_NS9_4lessIiEEEE10hipError_tPvRmT0_T1_T2_T3_T4_T5_mmT6_P12ihipStream_tbEUlT_E0_NS1_11comp_targetILNS1_3genE10ELNS1_11target_archE1200ELNS1_3gpuE4ELNS1_3repE0EEENS1_30default_config_static_selectorELNS0_4arch9wavefront6targetE1EEEvSP_.num_named_barrier, 0
	.set _ZN7rocprim17ROCPRIM_400000_NS6detail17trampoline_kernelINS0_14default_configENS1_21merge_config_selectorIiNS0_10empty_typeEEEZNS1_10merge_implIS3_N6thrust23THRUST_200600_302600_NS6detail15normal_iteratorINS9_10device_ptrIKiEEEESF_NSB_INSC_IiEEEEPS5_SI_SI_NS9_4lessIiEEEE10hipError_tPvRmT0_T1_T2_T3_T4_T5_mmT6_P12ihipStream_tbEUlT_E0_NS1_11comp_targetILNS1_3genE10ELNS1_11target_archE1200ELNS1_3gpuE4ELNS1_3repE0EEENS1_30default_config_static_selectorELNS0_4arch9wavefront6targetE1EEEvSP_.private_seg_size, 0
	.set _ZN7rocprim17ROCPRIM_400000_NS6detail17trampoline_kernelINS0_14default_configENS1_21merge_config_selectorIiNS0_10empty_typeEEEZNS1_10merge_implIS3_N6thrust23THRUST_200600_302600_NS6detail15normal_iteratorINS9_10device_ptrIKiEEEESF_NSB_INSC_IiEEEEPS5_SI_SI_NS9_4lessIiEEEE10hipError_tPvRmT0_T1_T2_T3_T4_T5_mmT6_P12ihipStream_tbEUlT_E0_NS1_11comp_targetILNS1_3genE10ELNS1_11target_archE1200ELNS1_3gpuE4ELNS1_3repE0EEENS1_30default_config_static_selectorELNS0_4arch9wavefront6targetE1EEEvSP_.uses_vcc, 0
	.set _ZN7rocprim17ROCPRIM_400000_NS6detail17trampoline_kernelINS0_14default_configENS1_21merge_config_selectorIiNS0_10empty_typeEEEZNS1_10merge_implIS3_N6thrust23THRUST_200600_302600_NS6detail15normal_iteratorINS9_10device_ptrIKiEEEESF_NSB_INSC_IiEEEEPS5_SI_SI_NS9_4lessIiEEEE10hipError_tPvRmT0_T1_T2_T3_T4_T5_mmT6_P12ihipStream_tbEUlT_E0_NS1_11comp_targetILNS1_3genE10ELNS1_11target_archE1200ELNS1_3gpuE4ELNS1_3repE0EEENS1_30default_config_static_selectorELNS0_4arch9wavefront6targetE1EEEvSP_.uses_flat_scratch, 0
	.set _ZN7rocprim17ROCPRIM_400000_NS6detail17trampoline_kernelINS0_14default_configENS1_21merge_config_selectorIiNS0_10empty_typeEEEZNS1_10merge_implIS3_N6thrust23THRUST_200600_302600_NS6detail15normal_iteratorINS9_10device_ptrIKiEEEESF_NSB_INSC_IiEEEEPS5_SI_SI_NS9_4lessIiEEEE10hipError_tPvRmT0_T1_T2_T3_T4_T5_mmT6_P12ihipStream_tbEUlT_E0_NS1_11comp_targetILNS1_3genE10ELNS1_11target_archE1200ELNS1_3gpuE4ELNS1_3repE0EEENS1_30default_config_static_selectorELNS0_4arch9wavefront6targetE1EEEvSP_.has_dyn_sized_stack, 0
	.set _ZN7rocprim17ROCPRIM_400000_NS6detail17trampoline_kernelINS0_14default_configENS1_21merge_config_selectorIiNS0_10empty_typeEEEZNS1_10merge_implIS3_N6thrust23THRUST_200600_302600_NS6detail15normal_iteratorINS9_10device_ptrIKiEEEESF_NSB_INSC_IiEEEEPS5_SI_SI_NS9_4lessIiEEEE10hipError_tPvRmT0_T1_T2_T3_T4_T5_mmT6_P12ihipStream_tbEUlT_E0_NS1_11comp_targetILNS1_3genE10ELNS1_11target_archE1200ELNS1_3gpuE4ELNS1_3repE0EEENS1_30default_config_static_selectorELNS0_4arch9wavefront6targetE1EEEvSP_.has_recursion, 0
	.set _ZN7rocprim17ROCPRIM_400000_NS6detail17trampoline_kernelINS0_14default_configENS1_21merge_config_selectorIiNS0_10empty_typeEEEZNS1_10merge_implIS3_N6thrust23THRUST_200600_302600_NS6detail15normal_iteratorINS9_10device_ptrIKiEEEESF_NSB_INSC_IiEEEEPS5_SI_SI_NS9_4lessIiEEEE10hipError_tPvRmT0_T1_T2_T3_T4_T5_mmT6_P12ihipStream_tbEUlT_E0_NS1_11comp_targetILNS1_3genE10ELNS1_11target_archE1200ELNS1_3gpuE4ELNS1_3repE0EEENS1_30default_config_static_selectorELNS0_4arch9wavefront6targetE1EEEvSP_.has_indirect_call, 0
	.section	.AMDGPU.csdata,"",@progbits
; Kernel info:
; codeLenInByte = 0
; TotalNumSgprs: 6
; NumVgprs: 0
; NumAgprs: 0
; TotalNumVgprs: 0
; ScratchSize: 0
; MemoryBound: 0
; FloatMode: 240
; IeeeMode: 1
; LDSByteSize: 0 bytes/workgroup (compile time only)
; SGPRBlocks: 0
; VGPRBlocks: 0
; NumSGPRsForWavesPerEU: 6
; NumVGPRsForWavesPerEU: 1
; AccumOffset: 4
; Occupancy: 8
; WaveLimiterHint : 0
; COMPUTE_PGM_RSRC2:SCRATCH_EN: 0
; COMPUTE_PGM_RSRC2:USER_SGPR: 2
; COMPUTE_PGM_RSRC2:TRAP_HANDLER: 0
; COMPUTE_PGM_RSRC2:TGID_X_EN: 1
; COMPUTE_PGM_RSRC2:TGID_Y_EN: 0
; COMPUTE_PGM_RSRC2:TGID_Z_EN: 0
; COMPUTE_PGM_RSRC2:TIDIG_COMP_CNT: 0
; COMPUTE_PGM_RSRC3_GFX90A:ACCUM_OFFSET: 0
; COMPUTE_PGM_RSRC3_GFX90A:TG_SPLIT: 0
	.section	.text._ZN7rocprim17ROCPRIM_400000_NS6detail17trampoline_kernelINS0_14default_configENS1_21merge_config_selectorIiNS0_10empty_typeEEEZNS1_10merge_implIS3_N6thrust23THRUST_200600_302600_NS6detail15normal_iteratorINS9_10device_ptrIKiEEEESF_NSB_INSC_IiEEEEPS5_SI_SI_NS9_4lessIiEEEE10hipError_tPvRmT0_T1_T2_T3_T4_T5_mmT6_P12ihipStream_tbEUlT_E0_NS1_11comp_targetILNS1_3genE9ELNS1_11target_archE1100ELNS1_3gpuE3ELNS1_3repE0EEENS1_30default_config_static_selectorELNS0_4arch9wavefront6targetE1EEEvSP_,"axG",@progbits,_ZN7rocprim17ROCPRIM_400000_NS6detail17trampoline_kernelINS0_14default_configENS1_21merge_config_selectorIiNS0_10empty_typeEEEZNS1_10merge_implIS3_N6thrust23THRUST_200600_302600_NS6detail15normal_iteratorINS9_10device_ptrIKiEEEESF_NSB_INSC_IiEEEEPS5_SI_SI_NS9_4lessIiEEEE10hipError_tPvRmT0_T1_T2_T3_T4_T5_mmT6_P12ihipStream_tbEUlT_E0_NS1_11comp_targetILNS1_3genE9ELNS1_11target_archE1100ELNS1_3gpuE3ELNS1_3repE0EEENS1_30default_config_static_selectorELNS0_4arch9wavefront6targetE1EEEvSP_,comdat
	.protected	_ZN7rocprim17ROCPRIM_400000_NS6detail17trampoline_kernelINS0_14default_configENS1_21merge_config_selectorIiNS0_10empty_typeEEEZNS1_10merge_implIS3_N6thrust23THRUST_200600_302600_NS6detail15normal_iteratorINS9_10device_ptrIKiEEEESF_NSB_INSC_IiEEEEPS5_SI_SI_NS9_4lessIiEEEE10hipError_tPvRmT0_T1_T2_T3_T4_T5_mmT6_P12ihipStream_tbEUlT_E0_NS1_11comp_targetILNS1_3genE9ELNS1_11target_archE1100ELNS1_3gpuE3ELNS1_3repE0EEENS1_30default_config_static_selectorELNS0_4arch9wavefront6targetE1EEEvSP_ ; -- Begin function _ZN7rocprim17ROCPRIM_400000_NS6detail17trampoline_kernelINS0_14default_configENS1_21merge_config_selectorIiNS0_10empty_typeEEEZNS1_10merge_implIS3_N6thrust23THRUST_200600_302600_NS6detail15normal_iteratorINS9_10device_ptrIKiEEEESF_NSB_INSC_IiEEEEPS5_SI_SI_NS9_4lessIiEEEE10hipError_tPvRmT0_T1_T2_T3_T4_T5_mmT6_P12ihipStream_tbEUlT_E0_NS1_11comp_targetILNS1_3genE9ELNS1_11target_archE1100ELNS1_3gpuE3ELNS1_3repE0EEENS1_30default_config_static_selectorELNS0_4arch9wavefront6targetE1EEEvSP_
	.globl	_ZN7rocprim17ROCPRIM_400000_NS6detail17trampoline_kernelINS0_14default_configENS1_21merge_config_selectorIiNS0_10empty_typeEEEZNS1_10merge_implIS3_N6thrust23THRUST_200600_302600_NS6detail15normal_iteratorINS9_10device_ptrIKiEEEESF_NSB_INSC_IiEEEEPS5_SI_SI_NS9_4lessIiEEEE10hipError_tPvRmT0_T1_T2_T3_T4_T5_mmT6_P12ihipStream_tbEUlT_E0_NS1_11comp_targetILNS1_3genE9ELNS1_11target_archE1100ELNS1_3gpuE3ELNS1_3repE0EEENS1_30default_config_static_selectorELNS0_4arch9wavefront6targetE1EEEvSP_
	.p2align	8
	.type	_ZN7rocprim17ROCPRIM_400000_NS6detail17trampoline_kernelINS0_14default_configENS1_21merge_config_selectorIiNS0_10empty_typeEEEZNS1_10merge_implIS3_N6thrust23THRUST_200600_302600_NS6detail15normal_iteratorINS9_10device_ptrIKiEEEESF_NSB_INSC_IiEEEEPS5_SI_SI_NS9_4lessIiEEEE10hipError_tPvRmT0_T1_T2_T3_T4_T5_mmT6_P12ihipStream_tbEUlT_E0_NS1_11comp_targetILNS1_3genE9ELNS1_11target_archE1100ELNS1_3gpuE3ELNS1_3repE0EEENS1_30default_config_static_selectorELNS0_4arch9wavefront6targetE1EEEvSP_,@function
_ZN7rocprim17ROCPRIM_400000_NS6detail17trampoline_kernelINS0_14default_configENS1_21merge_config_selectorIiNS0_10empty_typeEEEZNS1_10merge_implIS3_N6thrust23THRUST_200600_302600_NS6detail15normal_iteratorINS9_10device_ptrIKiEEEESF_NSB_INSC_IiEEEEPS5_SI_SI_NS9_4lessIiEEEE10hipError_tPvRmT0_T1_T2_T3_T4_T5_mmT6_P12ihipStream_tbEUlT_E0_NS1_11comp_targetILNS1_3genE9ELNS1_11target_archE1100ELNS1_3gpuE3ELNS1_3repE0EEENS1_30default_config_static_selectorELNS0_4arch9wavefront6targetE1EEEvSP_: ; @_ZN7rocprim17ROCPRIM_400000_NS6detail17trampoline_kernelINS0_14default_configENS1_21merge_config_selectorIiNS0_10empty_typeEEEZNS1_10merge_implIS3_N6thrust23THRUST_200600_302600_NS6detail15normal_iteratorINS9_10device_ptrIKiEEEESF_NSB_INSC_IiEEEEPS5_SI_SI_NS9_4lessIiEEEE10hipError_tPvRmT0_T1_T2_T3_T4_T5_mmT6_P12ihipStream_tbEUlT_E0_NS1_11comp_targetILNS1_3genE9ELNS1_11target_archE1100ELNS1_3gpuE3ELNS1_3repE0EEENS1_30default_config_static_selectorELNS0_4arch9wavefront6targetE1EEEvSP_
; %bb.0:
	.section	.rodata,"a",@progbits
	.p2align	6, 0x0
	.amdhsa_kernel _ZN7rocprim17ROCPRIM_400000_NS6detail17trampoline_kernelINS0_14default_configENS1_21merge_config_selectorIiNS0_10empty_typeEEEZNS1_10merge_implIS3_N6thrust23THRUST_200600_302600_NS6detail15normal_iteratorINS9_10device_ptrIKiEEEESF_NSB_INSC_IiEEEEPS5_SI_SI_NS9_4lessIiEEEE10hipError_tPvRmT0_T1_T2_T3_T4_T5_mmT6_P12ihipStream_tbEUlT_E0_NS1_11comp_targetILNS1_3genE9ELNS1_11target_archE1100ELNS1_3gpuE3ELNS1_3repE0EEENS1_30default_config_static_selectorELNS0_4arch9wavefront6targetE1EEEvSP_
		.amdhsa_group_segment_fixed_size 0
		.amdhsa_private_segment_fixed_size 0
		.amdhsa_kernarg_size 88
		.amdhsa_user_sgpr_count 2
		.amdhsa_user_sgpr_dispatch_ptr 0
		.amdhsa_user_sgpr_queue_ptr 0
		.amdhsa_user_sgpr_kernarg_segment_ptr 1
		.amdhsa_user_sgpr_dispatch_id 0
		.amdhsa_user_sgpr_kernarg_preload_length 0
		.amdhsa_user_sgpr_kernarg_preload_offset 0
		.amdhsa_user_sgpr_private_segment_size 0
		.amdhsa_uses_dynamic_stack 0
		.amdhsa_enable_private_segment 0
		.amdhsa_system_sgpr_workgroup_id_x 1
		.amdhsa_system_sgpr_workgroup_id_y 0
		.amdhsa_system_sgpr_workgroup_id_z 0
		.amdhsa_system_sgpr_workgroup_info 0
		.amdhsa_system_vgpr_workitem_id 0
		.amdhsa_next_free_vgpr 1
		.amdhsa_next_free_sgpr 0
		.amdhsa_accum_offset 4
		.amdhsa_reserve_vcc 0
		.amdhsa_float_round_mode_32 0
		.amdhsa_float_round_mode_16_64 0
		.amdhsa_float_denorm_mode_32 3
		.amdhsa_float_denorm_mode_16_64 3
		.amdhsa_dx10_clamp 1
		.amdhsa_ieee_mode 1
		.amdhsa_fp16_overflow 0
		.amdhsa_tg_split 0
		.amdhsa_exception_fp_ieee_invalid_op 0
		.amdhsa_exception_fp_denorm_src 0
		.amdhsa_exception_fp_ieee_div_zero 0
		.amdhsa_exception_fp_ieee_overflow 0
		.amdhsa_exception_fp_ieee_underflow 0
		.amdhsa_exception_fp_ieee_inexact 0
		.amdhsa_exception_int_div_zero 0
	.end_amdhsa_kernel
	.section	.text._ZN7rocprim17ROCPRIM_400000_NS6detail17trampoline_kernelINS0_14default_configENS1_21merge_config_selectorIiNS0_10empty_typeEEEZNS1_10merge_implIS3_N6thrust23THRUST_200600_302600_NS6detail15normal_iteratorINS9_10device_ptrIKiEEEESF_NSB_INSC_IiEEEEPS5_SI_SI_NS9_4lessIiEEEE10hipError_tPvRmT0_T1_T2_T3_T4_T5_mmT6_P12ihipStream_tbEUlT_E0_NS1_11comp_targetILNS1_3genE9ELNS1_11target_archE1100ELNS1_3gpuE3ELNS1_3repE0EEENS1_30default_config_static_selectorELNS0_4arch9wavefront6targetE1EEEvSP_,"axG",@progbits,_ZN7rocprim17ROCPRIM_400000_NS6detail17trampoline_kernelINS0_14default_configENS1_21merge_config_selectorIiNS0_10empty_typeEEEZNS1_10merge_implIS3_N6thrust23THRUST_200600_302600_NS6detail15normal_iteratorINS9_10device_ptrIKiEEEESF_NSB_INSC_IiEEEEPS5_SI_SI_NS9_4lessIiEEEE10hipError_tPvRmT0_T1_T2_T3_T4_T5_mmT6_P12ihipStream_tbEUlT_E0_NS1_11comp_targetILNS1_3genE9ELNS1_11target_archE1100ELNS1_3gpuE3ELNS1_3repE0EEENS1_30default_config_static_selectorELNS0_4arch9wavefront6targetE1EEEvSP_,comdat
.Lfunc_end17:
	.size	_ZN7rocprim17ROCPRIM_400000_NS6detail17trampoline_kernelINS0_14default_configENS1_21merge_config_selectorIiNS0_10empty_typeEEEZNS1_10merge_implIS3_N6thrust23THRUST_200600_302600_NS6detail15normal_iteratorINS9_10device_ptrIKiEEEESF_NSB_INSC_IiEEEEPS5_SI_SI_NS9_4lessIiEEEE10hipError_tPvRmT0_T1_T2_T3_T4_T5_mmT6_P12ihipStream_tbEUlT_E0_NS1_11comp_targetILNS1_3genE9ELNS1_11target_archE1100ELNS1_3gpuE3ELNS1_3repE0EEENS1_30default_config_static_selectorELNS0_4arch9wavefront6targetE1EEEvSP_, .Lfunc_end17-_ZN7rocprim17ROCPRIM_400000_NS6detail17trampoline_kernelINS0_14default_configENS1_21merge_config_selectorIiNS0_10empty_typeEEEZNS1_10merge_implIS3_N6thrust23THRUST_200600_302600_NS6detail15normal_iteratorINS9_10device_ptrIKiEEEESF_NSB_INSC_IiEEEEPS5_SI_SI_NS9_4lessIiEEEE10hipError_tPvRmT0_T1_T2_T3_T4_T5_mmT6_P12ihipStream_tbEUlT_E0_NS1_11comp_targetILNS1_3genE9ELNS1_11target_archE1100ELNS1_3gpuE3ELNS1_3repE0EEENS1_30default_config_static_selectorELNS0_4arch9wavefront6targetE1EEEvSP_
                                        ; -- End function
	.set _ZN7rocprim17ROCPRIM_400000_NS6detail17trampoline_kernelINS0_14default_configENS1_21merge_config_selectorIiNS0_10empty_typeEEEZNS1_10merge_implIS3_N6thrust23THRUST_200600_302600_NS6detail15normal_iteratorINS9_10device_ptrIKiEEEESF_NSB_INSC_IiEEEEPS5_SI_SI_NS9_4lessIiEEEE10hipError_tPvRmT0_T1_T2_T3_T4_T5_mmT6_P12ihipStream_tbEUlT_E0_NS1_11comp_targetILNS1_3genE9ELNS1_11target_archE1100ELNS1_3gpuE3ELNS1_3repE0EEENS1_30default_config_static_selectorELNS0_4arch9wavefront6targetE1EEEvSP_.num_vgpr, 0
	.set _ZN7rocprim17ROCPRIM_400000_NS6detail17trampoline_kernelINS0_14default_configENS1_21merge_config_selectorIiNS0_10empty_typeEEEZNS1_10merge_implIS3_N6thrust23THRUST_200600_302600_NS6detail15normal_iteratorINS9_10device_ptrIKiEEEESF_NSB_INSC_IiEEEEPS5_SI_SI_NS9_4lessIiEEEE10hipError_tPvRmT0_T1_T2_T3_T4_T5_mmT6_P12ihipStream_tbEUlT_E0_NS1_11comp_targetILNS1_3genE9ELNS1_11target_archE1100ELNS1_3gpuE3ELNS1_3repE0EEENS1_30default_config_static_selectorELNS0_4arch9wavefront6targetE1EEEvSP_.num_agpr, 0
	.set _ZN7rocprim17ROCPRIM_400000_NS6detail17trampoline_kernelINS0_14default_configENS1_21merge_config_selectorIiNS0_10empty_typeEEEZNS1_10merge_implIS3_N6thrust23THRUST_200600_302600_NS6detail15normal_iteratorINS9_10device_ptrIKiEEEESF_NSB_INSC_IiEEEEPS5_SI_SI_NS9_4lessIiEEEE10hipError_tPvRmT0_T1_T2_T3_T4_T5_mmT6_P12ihipStream_tbEUlT_E0_NS1_11comp_targetILNS1_3genE9ELNS1_11target_archE1100ELNS1_3gpuE3ELNS1_3repE0EEENS1_30default_config_static_selectorELNS0_4arch9wavefront6targetE1EEEvSP_.numbered_sgpr, 0
	.set _ZN7rocprim17ROCPRIM_400000_NS6detail17trampoline_kernelINS0_14default_configENS1_21merge_config_selectorIiNS0_10empty_typeEEEZNS1_10merge_implIS3_N6thrust23THRUST_200600_302600_NS6detail15normal_iteratorINS9_10device_ptrIKiEEEESF_NSB_INSC_IiEEEEPS5_SI_SI_NS9_4lessIiEEEE10hipError_tPvRmT0_T1_T2_T3_T4_T5_mmT6_P12ihipStream_tbEUlT_E0_NS1_11comp_targetILNS1_3genE9ELNS1_11target_archE1100ELNS1_3gpuE3ELNS1_3repE0EEENS1_30default_config_static_selectorELNS0_4arch9wavefront6targetE1EEEvSP_.num_named_barrier, 0
	.set _ZN7rocprim17ROCPRIM_400000_NS6detail17trampoline_kernelINS0_14default_configENS1_21merge_config_selectorIiNS0_10empty_typeEEEZNS1_10merge_implIS3_N6thrust23THRUST_200600_302600_NS6detail15normal_iteratorINS9_10device_ptrIKiEEEESF_NSB_INSC_IiEEEEPS5_SI_SI_NS9_4lessIiEEEE10hipError_tPvRmT0_T1_T2_T3_T4_T5_mmT6_P12ihipStream_tbEUlT_E0_NS1_11comp_targetILNS1_3genE9ELNS1_11target_archE1100ELNS1_3gpuE3ELNS1_3repE0EEENS1_30default_config_static_selectorELNS0_4arch9wavefront6targetE1EEEvSP_.private_seg_size, 0
	.set _ZN7rocprim17ROCPRIM_400000_NS6detail17trampoline_kernelINS0_14default_configENS1_21merge_config_selectorIiNS0_10empty_typeEEEZNS1_10merge_implIS3_N6thrust23THRUST_200600_302600_NS6detail15normal_iteratorINS9_10device_ptrIKiEEEESF_NSB_INSC_IiEEEEPS5_SI_SI_NS9_4lessIiEEEE10hipError_tPvRmT0_T1_T2_T3_T4_T5_mmT6_P12ihipStream_tbEUlT_E0_NS1_11comp_targetILNS1_3genE9ELNS1_11target_archE1100ELNS1_3gpuE3ELNS1_3repE0EEENS1_30default_config_static_selectorELNS0_4arch9wavefront6targetE1EEEvSP_.uses_vcc, 0
	.set _ZN7rocprim17ROCPRIM_400000_NS6detail17trampoline_kernelINS0_14default_configENS1_21merge_config_selectorIiNS0_10empty_typeEEEZNS1_10merge_implIS3_N6thrust23THRUST_200600_302600_NS6detail15normal_iteratorINS9_10device_ptrIKiEEEESF_NSB_INSC_IiEEEEPS5_SI_SI_NS9_4lessIiEEEE10hipError_tPvRmT0_T1_T2_T3_T4_T5_mmT6_P12ihipStream_tbEUlT_E0_NS1_11comp_targetILNS1_3genE9ELNS1_11target_archE1100ELNS1_3gpuE3ELNS1_3repE0EEENS1_30default_config_static_selectorELNS0_4arch9wavefront6targetE1EEEvSP_.uses_flat_scratch, 0
	.set _ZN7rocprim17ROCPRIM_400000_NS6detail17trampoline_kernelINS0_14default_configENS1_21merge_config_selectorIiNS0_10empty_typeEEEZNS1_10merge_implIS3_N6thrust23THRUST_200600_302600_NS6detail15normal_iteratorINS9_10device_ptrIKiEEEESF_NSB_INSC_IiEEEEPS5_SI_SI_NS9_4lessIiEEEE10hipError_tPvRmT0_T1_T2_T3_T4_T5_mmT6_P12ihipStream_tbEUlT_E0_NS1_11comp_targetILNS1_3genE9ELNS1_11target_archE1100ELNS1_3gpuE3ELNS1_3repE0EEENS1_30default_config_static_selectorELNS0_4arch9wavefront6targetE1EEEvSP_.has_dyn_sized_stack, 0
	.set _ZN7rocprim17ROCPRIM_400000_NS6detail17trampoline_kernelINS0_14default_configENS1_21merge_config_selectorIiNS0_10empty_typeEEEZNS1_10merge_implIS3_N6thrust23THRUST_200600_302600_NS6detail15normal_iteratorINS9_10device_ptrIKiEEEESF_NSB_INSC_IiEEEEPS5_SI_SI_NS9_4lessIiEEEE10hipError_tPvRmT0_T1_T2_T3_T4_T5_mmT6_P12ihipStream_tbEUlT_E0_NS1_11comp_targetILNS1_3genE9ELNS1_11target_archE1100ELNS1_3gpuE3ELNS1_3repE0EEENS1_30default_config_static_selectorELNS0_4arch9wavefront6targetE1EEEvSP_.has_recursion, 0
	.set _ZN7rocprim17ROCPRIM_400000_NS6detail17trampoline_kernelINS0_14default_configENS1_21merge_config_selectorIiNS0_10empty_typeEEEZNS1_10merge_implIS3_N6thrust23THRUST_200600_302600_NS6detail15normal_iteratorINS9_10device_ptrIKiEEEESF_NSB_INSC_IiEEEEPS5_SI_SI_NS9_4lessIiEEEE10hipError_tPvRmT0_T1_T2_T3_T4_T5_mmT6_P12ihipStream_tbEUlT_E0_NS1_11comp_targetILNS1_3genE9ELNS1_11target_archE1100ELNS1_3gpuE3ELNS1_3repE0EEENS1_30default_config_static_selectorELNS0_4arch9wavefront6targetE1EEEvSP_.has_indirect_call, 0
	.section	.AMDGPU.csdata,"",@progbits
; Kernel info:
; codeLenInByte = 0
; TotalNumSgprs: 6
; NumVgprs: 0
; NumAgprs: 0
; TotalNumVgprs: 0
; ScratchSize: 0
; MemoryBound: 0
; FloatMode: 240
; IeeeMode: 1
; LDSByteSize: 0 bytes/workgroup (compile time only)
; SGPRBlocks: 0
; VGPRBlocks: 0
; NumSGPRsForWavesPerEU: 6
; NumVGPRsForWavesPerEU: 1
; AccumOffset: 4
; Occupancy: 8
; WaveLimiterHint : 0
; COMPUTE_PGM_RSRC2:SCRATCH_EN: 0
; COMPUTE_PGM_RSRC2:USER_SGPR: 2
; COMPUTE_PGM_RSRC2:TRAP_HANDLER: 0
; COMPUTE_PGM_RSRC2:TGID_X_EN: 1
; COMPUTE_PGM_RSRC2:TGID_Y_EN: 0
; COMPUTE_PGM_RSRC2:TGID_Z_EN: 0
; COMPUTE_PGM_RSRC2:TIDIG_COMP_CNT: 0
; COMPUTE_PGM_RSRC3_GFX90A:ACCUM_OFFSET: 0
; COMPUTE_PGM_RSRC3_GFX90A:TG_SPLIT: 0
	.section	.text._ZN7rocprim17ROCPRIM_400000_NS6detail17trampoline_kernelINS0_14default_configENS1_21merge_config_selectorIiNS0_10empty_typeEEEZNS1_10merge_implIS3_N6thrust23THRUST_200600_302600_NS6detail15normal_iteratorINS9_10device_ptrIKiEEEESF_NSB_INSC_IiEEEEPS5_SI_SI_NS9_4lessIiEEEE10hipError_tPvRmT0_T1_T2_T3_T4_T5_mmT6_P12ihipStream_tbEUlT_E0_NS1_11comp_targetILNS1_3genE8ELNS1_11target_archE1030ELNS1_3gpuE2ELNS1_3repE0EEENS1_30default_config_static_selectorELNS0_4arch9wavefront6targetE1EEEvSP_,"axG",@progbits,_ZN7rocprim17ROCPRIM_400000_NS6detail17trampoline_kernelINS0_14default_configENS1_21merge_config_selectorIiNS0_10empty_typeEEEZNS1_10merge_implIS3_N6thrust23THRUST_200600_302600_NS6detail15normal_iteratorINS9_10device_ptrIKiEEEESF_NSB_INSC_IiEEEEPS5_SI_SI_NS9_4lessIiEEEE10hipError_tPvRmT0_T1_T2_T3_T4_T5_mmT6_P12ihipStream_tbEUlT_E0_NS1_11comp_targetILNS1_3genE8ELNS1_11target_archE1030ELNS1_3gpuE2ELNS1_3repE0EEENS1_30default_config_static_selectorELNS0_4arch9wavefront6targetE1EEEvSP_,comdat
	.protected	_ZN7rocprim17ROCPRIM_400000_NS6detail17trampoline_kernelINS0_14default_configENS1_21merge_config_selectorIiNS0_10empty_typeEEEZNS1_10merge_implIS3_N6thrust23THRUST_200600_302600_NS6detail15normal_iteratorINS9_10device_ptrIKiEEEESF_NSB_INSC_IiEEEEPS5_SI_SI_NS9_4lessIiEEEE10hipError_tPvRmT0_T1_T2_T3_T4_T5_mmT6_P12ihipStream_tbEUlT_E0_NS1_11comp_targetILNS1_3genE8ELNS1_11target_archE1030ELNS1_3gpuE2ELNS1_3repE0EEENS1_30default_config_static_selectorELNS0_4arch9wavefront6targetE1EEEvSP_ ; -- Begin function _ZN7rocprim17ROCPRIM_400000_NS6detail17trampoline_kernelINS0_14default_configENS1_21merge_config_selectorIiNS0_10empty_typeEEEZNS1_10merge_implIS3_N6thrust23THRUST_200600_302600_NS6detail15normal_iteratorINS9_10device_ptrIKiEEEESF_NSB_INSC_IiEEEEPS5_SI_SI_NS9_4lessIiEEEE10hipError_tPvRmT0_T1_T2_T3_T4_T5_mmT6_P12ihipStream_tbEUlT_E0_NS1_11comp_targetILNS1_3genE8ELNS1_11target_archE1030ELNS1_3gpuE2ELNS1_3repE0EEENS1_30default_config_static_selectorELNS0_4arch9wavefront6targetE1EEEvSP_
	.globl	_ZN7rocprim17ROCPRIM_400000_NS6detail17trampoline_kernelINS0_14default_configENS1_21merge_config_selectorIiNS0_10empty_typeEEEZNS1_10merge_implIS3_N6thrust23THRUST_200600_302600_NS6detail15normal_iteratorINS9_10device_ptrIKiEEEESF_NSB_INSC_IiEEEEPS5_SI_SI_NS9_4lessIiEEEE10hipError_tPvRmT0_T1_T2_T3_T4_T5_mmT6_P12ihipStream_tbEUlT_E0_NS1_11comp_targetILNS1_3genE8ELNS1_11target_archE1030ELNS1_3gpuE2ELNS1_3repE0EEENS1_30default_config_static_selectorELNS0_4arch9wavefront6targetE1EEEvSP_
	.p2align	8
	.type	_ZN7rocprim17ROCPRIM_400000_NS6detail17trampoline_kernelINS0_14default_configENS1_21merge_config_selectorIiNS0_10empty_typeEEEZNS1_10merge_implIS3_N6thrust23THRUST_200600_302600_NS6detail15normal_iteratorINS9_10device_ptrIKiEEEESF_NSB_INSC_IiEEEEPS5_SI_SI_NS9_4lessIiEEEE10hipError_tPvRmT0_T1_T2_T3_T4_T5_mmT6_P12ihipStream_tbEUlT_E0_NS1_11comp_targetILNS1_3genE8ELNS1_11target_archE1030ELNS1_3gpuE2ELNS1_3repE0EEENS1_30default_config_static_selectorELNS0_4arch9wavefront6targetE1EEEvSP_,@function
_ZN7rocprim17ROCPRIM_400000_NS6detail17trampoline_kernelINS0_14default_configENS1_21merge_config_selectorIiNS0_10empty_typeEEEZNS1_10merge_implIS3_N6thrust23THRUST_200600_302600_NS6detail15normal_iteratorINS9_10device_ptrIKiEEEESF_NSB_INSC_IiEEEEPS5_SI_SI_NS9_4lessIiEEEE10hipError_tPvRmT0_T1_T2_T3_T4_T5_mmT6_P12ihipStream_tbEUlT_E0_NS1_11comp_targetILNS1_3genE8ELNS1_11target_archE1030ELNS1_3gpuE2ELNS1_3repE0EEENS1_30default_config_static_selectorELNS0_4arch9wavefront6targetE1EEEvSP_: ; @_ZN7rocprim17ROCPRIM_400000_NS6detail17trampoline_kernelINS0_14default_configENS1_21merge_config_selectorIiNS0_10empty_typeEEEZNS1_10merge_implIS3_N6thrust23THRUST_200600_302600_NS6detail15normal_iteratorINS9_10device_ptrIKiEEEESF_NSB_INSC_IiEEEEPS5_SI_SI_NS9_4lessIiEEEE10hipError_tPvRmT0_T1_T2_T3_T4_T5_mmT6_P12ihipStream_tbEUlT_E0_NS1_11comp_targetILNS1_3genE8ELNS1_11target_archE1030ELNS1_3gpuE2ELNS1_3repE0EEENS1_30default_config_static_selectorELNS0_4arch9wavefront6targetE1EEEvSP_
; %bb.0:
	.section	.rodata,"a",@progbits
	.p2align	6, 0x0
	.amdhsa_kernel _ZN7rocprim17ROCPRIM_400000_NS6detail17trampoline_kernelINS0_14default_configENS1_21merge_config_selectorIiNS0_10empty_typeEEEZNS1_10merge_implIS3_N6thrust23THRUST_200600_302600_NS6detail15normal_iteratorINS9_10device_ptrIKiEEEESF_NSB_INSC_IiEEEEPS5_SI_SI_NS9_4lessIiEEEE10hipError_tPvRmT0_T1_T2_T3_T4_T5_mmT6_P12ihipStream_tbEUlT_E0_NS1_11comp_targetILNS1_3genE8ELNS1_11target_archE1030ELNS1_3gpuE2ELNS1_3repE0EEENS1_30default_config_static_selectorELNS0_4arch9wavefront6targetE1EEEvSP_
		.amdhsa_group_segment_fixed_size 0
		.amdhsa_private_segment_fixed_size 0
		.amdhsa_kernarg_size 88
		.amdhsa_user_sgpr_count 2
		.amdhsa_user_sgpr_dispatch_ptr 0
		.amdhsa_user_sgpr_queue_ptr 0
		.amdhsa_user_sgpr_kernarg_segment_ptr 1
		.amdhsa_user_sgpr_dispatch_id 0
		.amdhsa_user_sgpr_kernarg_preload_length 0
		.amdhsa_user_sgpr_kernarg_preload_offset 0
		.amdhsa_user_sgpr_private_segment_size 0
		.amdhsa_uses_dynamic_stack 0
		.amdhsa_enable_private_segment 0
		.amdhsa_system_sgpr_workgroup_id_x 1
		.amdhsa_system_sgpr_workgroup_id_y 0
		.amdhsa_system_sgpr_workgroup_id_z 0
		.amdhsa_system_sgpr_workgroup_info 0
		.amdhsa_system_vgpr_workitem_id 0
		.amdhsa_next_free_vgpr 1
		.amdhsa_next_free_sgpr 0
		.amdhsa_accum_offset 4
		.amdhsa_reserve_vcc 0
		.amdhsa_float_round_mode_32 0
		.amdhsa_float_round_mode_16_64 0
		.amdhsa_float_denorm_mode_32 3
		.amdhsa_float_denorm_mode_16_64 3
		.amdhsa_dx10_clamp 1
		.amdhsa_ieee_mode 1
		.amdhsa_fp16_overflow 0
		.amdhsa_tg_split 0
		.amdhsa_exception_fp_ieee_invalid_op 0
		.amdhsa_exception_fp_denorm_src 0
		.amdhsa_exception_fp_ieee_div_zero 0
		.amdhsa_exception_fp_ieee_overflow 0
		.amdhsa_exception_fp_ieee_underflow 0
		.amdhsa_exception_fp_ieee_inexact 0
		.amdhsa_exception_int_div_zero 0
	.end_amdhsa_kernel
	.section	.text._ZN7rocprim17ROCPRIM_400000_NS6detail17trampoline_kernelINS0_14default_configENS1_21merge_config_selectorIiNS0_10empty_typeEEEZNS1_10merge_implIS3_N6thrust23THRUST_200600_302600_NS6detail15normal_iteratorINS9_10device_ptrIKiEEEESF_NSB_INSC_IiEEEEPS5_SI_SI_NS9_4lessIiEEEE10hipError_tPvRmT0_T1_T2_T3_T4_T5_mmT6_P12ihipStream_tbEUlT_E0_NS1_11comp_targetILNS1_3genE8ELNS1_11target_archE1030ELNS1_3gpuE2ELNS1_3repE0EEENS1_30default_config_static_selectorELNS0_4arch9wavefront6targetE1EEEvSP_,"axG",@progbits,_ZN7rocprim17ROCPRIM_400000_NS6detail17trampoline_kernelINS0_14default_configENS1_21merge_config_selectorIiNS0_10empty_typeEEEZNS1_10merge_implIS3_N6thrust23THRUST_200600_302600_NS6detail15normal_iteratorINS9_10device_ptrIKiEEEESF_NSB_INSC_IiEEEEPS5_SI_SI_NS9_4lessIiEEEE10hipError_tPvRmT0_T1_T2_T3_T4_T5_mmT6_P12ihipStream_tbEUlT_E0_NS1_11comp_targetILNS1_3genE8ELNS1_11target_archE1030ELNS1_3gpuE2ELNS1_3repE0EEENS1_30default_config_static_selectorELNS0_4arch9wavefront6targetE1EEEvSP_,comdat
.Lfunc_end18:
	.size	_ZN7rocprim17ROCPRIM_400000_NS6detail17trampoline_kernelINS0_14default_configENS1_21merge_config_selectorIiNS0_10empty_typeEEEZNS1_10merge_implIS3_N6thrust23THRUST_200600_302600_NS6detail15normal_iteratorINS9_10device_ptrIKiEEEESF_NSB_INSC_IiEEEEPS5_SI_SI_NS9_4lessIiEEEE10hipError_tPvRmT0_T1_T2_T3_T4_T5_mmT6_P12ihipStream_tbEUlT_E0_NS1_11comp_targetILNS1_3genE8ELNS1_11target_archE1030ELNS1_3gpuE2ELNS1_3repE0EEENS1_30default_config_static_selectorELNS0_4arch9wavefront6targetE1EEEvSP_, .Lfunc_end18-_ZN7rocprim17ROCPRIM_400000_NS6detail17trampoline_kernelINS0_14default_configENS1_21merge_config_selectorIiNS0_10empty_typeEEEZNS1_10merge_implIS3_N6thrust23THRUST_200600_302600_NS6detail15normal_iteratorINS9_10device_ptrIKiEEEESF_NSB_INSC_IiEEEEPS5_SI_SI_NS9_4lessIiEEEE10hipError_tPvRmT0_T1_T2_T3_T4_T5_mmT6_P12ihipStream_tbEUlT_E0_NS1_11comp_targetILNS1_3genE8ELNS1_11target_archE1030ELNS1_3gpuE2ELNS1_3repE0EEENS1_30default_config_static_selectorELNS0_4arch9wavefront6targetE1EEEvSP_
                                        ; -- End function
	.set _ZN7rocprim17ROCPRIM_400000_NS6detail17trampoline_kernelINS0_14default_configENS1_21merge_config_selectorIiNS0_10empty_typeEEEZNS1_10merge_implIS3_N6thrust23THRUST_200600_302600_NS6detail15normal_iteratorINS9_10device_ptrIKiEEEESF_NSB_INSC_IiEEEEPS5_SI_SI_NS9_4lessIiEEEE10hipError_tPvRmT0_T1_T2_T3_T4_T5_mmT6_P12ihipStream_tbEUlT_E0_NS1_11comp_targetILNS1_3genE8ELNS1_11target_archE1030ELNS1_3gpuE2ELNS1_3repE0EEENS1_30default_config_static_selectorELNS0_4arch9wavefront6targetE1EEEvSP_.num_vgpr, 0
	.set _ZN7rocprim17ROCPRIM_400000_NS6detail17trampoline_kernelINS0_14default_configENS1_21merge_config_selectorIiNS0_10empty_typeEEEZNS1_10merge_implIS3_N6thrust23THRUST_200600_302600_NS6detail15normal_iteratorINS9_10device_ptrIKiEEEESF_NSB_INSC_IiEEEEPS5_SI_SI_NS9_4lessIiEEEE10hipError_tPvRmT0_T1_T2_T3_T4_T5_mmT6_P12ihipStream_tbEUlT_E0_NS1_11comp_targetILNS1_3genE8ELNS1_11target_archE1030ELNS1_3gpuE2ELNS1_3repE0EEENS1_30default_config_static_selectorELNS0_4arch9wavefront6targetE1EEEvSP_.num_agpr, 0
	.set _ZN7rocprim17ROCPRIM_400000_NS6detail17trampoline_kernelINS0_14default_configENS1_21merge_config_selectorIiNS0_10empty_typeEEEZNS1_10merge_implIS3_N6thrust23THRUST_200600_302600_NS6detail15normal_iteratorINS9_10device_ptrIKiEEEESF_NSB_INSC_IiEEEEPS5_SI_SI_NS9_4lessIiEEEE10hipError_tPvRmT0_T1_T2_T3_T4_T5_mmT6_P12ihipStream_tbEUlT_E0_NS1_11comp_targetILNS1_3genE8ELNS1_11target_archE1030ELNS1_3gpuE2ELNS1_3repE0EEENS1_30default_config_static_selectorELNS0_4arch9wavefront6targetE1EEEvSP_.numbered_sgpr, 0
	.set _ZN7rocprim17ROCPRIM_400000_NS6detail17trampoline_kernelINS0_14default_configENS1_21merge_config_selectorIiNS0_10empty_typeEEEZNS1_10merge_implIS3_N6thrust23THRUST_200600_302600_NS6detail15normal_iteratorINS9_10device_ptrIKiEEEESF_NSB_INSC_IiEEEEPS5_SI_SI_NS9_4lessIiEEEE10hipError_tPvRmT0_T1_T2_T3_T4_T5_mmT6_P12ihipStream_tbEUlT_E0_NS1_11comp_targetILNS1_3genE8ELNS1_11target_archE1030ELNS1_3gpuE2ELNS1_3repE0EEENS1_30default_config_static_selectorELNS0_4arch9wavefront6targetE1EEEvSP_.num_named_barrier, 0
	.set _ZN7rocprim17ROCPRIM_400000_NS6detail17trampoline_kernelINS0_14default_configENS1_21merge_config_selectorIiNS0_10empty_typeEEEZNS1_10merge_implIS3_N6thrust23THRUST_200600_302600_NS6detail15normal_iteratorINS9_10device_ptrIKiEEEESF_NSB_INSC_IiEEEEPS5_SI_SI_NS9_4lessIiEEEE10hipError_tPvRmT0_T1_T2_T3_T4_T5_mmT6_P12ihipStream_tbEUlT_E0_NS1_11comp_targetILNS1_3genE8ELNS1_11target_archE1030ELNS1_3gpuE2ELNS1_3repE0EEENS1_30default_config_static_selectorELNS0_4arch9wavefront6targetE1EEEvSP_.private_seg_size, 0
	.set _ZN7rocprim17ROCPRIM_400000_NS6detail17trampoline_kernelINS0_14default_configENS1_21merge_config_selectorIiNS0_10empty_typeEEEZNS1_10merge_implIS3_N6thrust23THRUST_200600_302600_NS6detail15normal_iteratorINS9_10device_ptrIKiEEEESF_NSB_INSC_IiEEEEPS5_SI_SI_NS9_4lessIiEEEE10hipError_tPvRmT0_T1_T2_T3_T4_T5_mmT6_P12ihipStream_tbEUlT_E0_NS1_11comp_targetILNS1_3genE8ELNS1_11target_archE1030ELNS1_3gpuE2ELNS1_3repE0EEENS1_30default_config_static_selectorELNS0_4arch9wavefront6targetE1EEEvSP_.uses_vcc, 0
	.set _ZN7rocprim17ROCPRIM_400000_NS6detail17trampoline_kernelINS0_14default_configENS1_21merge_config_selectorIiNS0_10empty_typeEEEZNS1_10merge_implIS3_N6thrust23THRUST_200600_302600_NS6detail15normal_iteratorINS9_10device_ptrIKiEEEESF_NSB_INSC_IiEEEEPS5_SI_SI_NS9_4lessIiEEEE10hipError_tPvRmT0_T1_T2_T3_T4_T5_mmT6_P12ihipStream_tbEUlT_E0_NS1_11comp_targetILNS1_3genE8ELNS1_11target_archE1030ELNS1_3gpuE2ELNS1_3repE0EEENS1_30default_config_static_selectorELNS0_4arch9wavefront6targetE1EEEvSP_.uses_flat_scratch, 0
	.set _ZN7rocprim17ROCPRIM_400000_NS6detail17trampoline_kernelINS0_14default_configENS1_21merge_config_selectorIiNS0_10empty_typeEEEZNS1_10merge_implIS3_N6thrust23THRUST_200600_302600_NS6detail15normal_iteratorINS9_10device_ptrIKiEEEESF_NSB_INSC_IiEEEEPS5_SI_SI_NS9_4lessIiEEEE10hipError_tPvRmT0_T1_T2_T3_T4_T5_mmT6_P12ihipStream_tbEUlT_E0_NS1_11comp_targetILNS1_3genE8ELNS1_11target_archE1030ELNS1_3gpuE2ELNS1_3repE0EEENS1_30default_config_static_selectorELNS0_4arch9wavefront6targetE1EEEvSP_.has_dyn_sized_stack, 0
	.set _ZN7rocprim17ROCPRIM_400000_NS6detail17trampoline_kernelINS0_14default_configENS1_21merge_config_selectorIiNS0_10empty_typeEEEZNS1_10merge_implIS3_N6thrust23THRUST_200600_302600_NS6detail15normal_iteratorINS9_10device_ptrIKiEEEESF_NSB_INSC_IiEEEEPS5_SI_SI_NS9_4lessIiEEEE10hipError_tPvRmT0_T1_T2_T3_T4_T5_mmT6_P12ihipStream_tbEUlT_E0_NS1_11comp_targetILNS1_3genE8ELNS1_11target_archE1030ELNS1_3gpuE2ELNS1_3repE0EEENS1_30default_config_static_selectorELNS0_4arch9wavefront6targetE1EEEvSP_.has_recursion, 0
	.set _ZN7rocprim17ROCPRIM_400000_NS6detail17trampoline_kernelINS0_14default_configENS1_21merge_config_selectorIiNS0_10empty_typeEEEZNS1_10merge_implIS3_N6thrust23THRUST_200600_302600_NS6detail15normal_iteratorINS9_10device_ptrIKiEEEESF_NSB_INSC_IiEEEEPS5_SI_SI_NS9_4lessIiEEEE10hipError_tPvRmT0_T1_T2_T3_T4_T5_mmT6_P12ihipStream_tbEUlT_E0_NS1_11comp_targetILNS1_3genE8ELNS1_11target_archE1030ELNS1_3gpuE2ELNS1_3repE0EEENS1_30default_config_static_selectorELNS0_4arch9wavefront6targetE1EEEvSP_.has_indirect_call, 0
	.section	.AMDGPU.csdata,"",@progbits
; Kernel info:
; codeLenInByte = 0
; TotalNumSgprs: 6
; NumVgprs: 0
; NumAgprs: 0
; TotalNumVgprs: 0
; ScratchSize: 0
; MemoryBound: 0
; FloatMode: 240
; IeeeMode: 1
; LDSByteSize: 0 bytes/workgroup (compile time only)
; SGPRBlocks: 0
; VGPRBlocks: 0
; NumSGPRsForWavesPerEU: 6
; NumVGPRsForWavesPerEU: 1
; AccumOffset: 4
; Occupancy: 8
; WaveLimiterHint : 0
; COMPUTE_PGM_RSRC2:SCRATCH_EN: 0
; COMPUTE_PGM_RSRC2:USER_SGPR: 2
; COMPUTE_PGM_RSRC2:TRAP_HANDLER: 0
; COMPUTE_PGM_RSRC2:TGID_X_EN: 1
; COMPUTE_PGM_RSRC2:TGID_Y_EN: 0
; COMPUTE_PGM_RSRC2:TGID_Z_EN: 0
; COMPUTE_PGM_RSRC2:TIDIG_COMP_CNT: 0
; COMPUTE_PGM_RSRC3_GFX90A:ACCUM_OFFSET: 0
; COMPUTE_PGM_RSRC3_GFX90A:TG_SPLIT: 0
	.section	.text._ZN7rocprim17ROCPRIM_400000_NS6detail31init_lookback_scan_state_kernelINS1_19lookback_scan_stateIlLb0ELb1EEENS1_16ordered_block_idIjEEEEvT_jT0_jPNS7_10value_typeE,"axG",@progbits,_ZN7rocprim17ROCPRIM_400000_NS6detail31init_lookback_scan_state_kernelINS1_19lookback_scan_stateIlLb0ELb1EEENS1_16ordered_block_idIjEEEEvT_jT0_jPNS7_10value_typeE,comdat
	.protected	_ZN7rocprim17ROCPRIM_400000_NS6detail31init_lookback_scan_state_kernelINS1_19lookback_scan_stateIlLb0ELb1EEENS1_16ordered_block_idIjEEEEvT_jT0_jPNS7_10value_typeE ; -- Begin function _ZN7rocprim17ROCPRIM_400000_NS6detail31init_lookback_scan_state_kernelINS1_19lookback_scan_stateIlLb0ELb1EEENS1_16ordered_block_idIjEEEEvT_jT0_jPNS7_10value_typeE
	.globl	_ZN7rocprim17ROCPRIM_400000_NS6detail31init_lookback_scan_state_kernelINS1_19lookback_scan_stateIlLb0ELb1EEENS1_16ordered_block_idIjEEEEvT_jT0_jPNS7_10value_typeE
	.p2align	8
	.type	_ZN7rocprim17ROCPRIM_400000_NS6detail31init_lookback_scan_state_kernelINS1_19lookback_scan_stateIlLb0ELb1EEENS1_16ordered_block_idIjEEEEvT_jT0_jPNS7_10value_typeE,@function
_ZN7rocprim17ROCPRIM_400000_NS6detail31init_lookback_scan_state_kernelINS1_19lookback_scan_stateIlLb0ELb1EEENS1_16ordered_block_idIjEEEEvT_jT0_jPNS7_10value_typeE: ; @_ZN7rocprim17ROCPRIM_400000_NS6detail31init_lookback_scan_state_kernelINS1_19lookback_scan_stateIlLb0ELb1EEENS1_16ordered_block_idIjEEEEvT_jT0_jPNS7_10value_typeE
; %bb.0:
	s_load_dword s3, s[0:1], 0x34
	s_load_dwordx2 s[6:7], s[0:1], 0x20
	s_load_dwordx2 s[4:5], s[0:1], 0x0
	s_load_dword s14, s[0:1], 0x8
	s_waitcnt lgkmcnt(0)
	s_and_b32 s3, s3, 0xffff
	s_mul_i32 s2, s2, s3
	s_cmp_eq_u64 s[6:7], 0
	v_add_u32_e32 v0, s2, v0
	s_cbranch_scc1 .LBB19_8
; %bb.1:
	s_load_dword s8, s[0:1], 0x18
	s_mov_b32 s9, 0
	s_waitcnt lgkmcnt(0)
	s_cmp_lt_u32 s8, s14
	s_cselect_b32 s2, s8, 0
	v_cmp_eq_u32_e32 vcc, s2, v0
	s_and_saveexec_b64 s[2:3], vcc
	s_cbranch_execz .LBB19_7
; %bb.2:
	s_add_i32 s8, s8, 64
	s_lshl_b64 s[8:9], s[8:9], 4
	s_add_u32 s12, s4, s8
	s_addc_u32 s13, s5, s9
	v_mov_b64_e32 v[2:3], s[12:13]
	;;#ASMSTART
	global_load_dwordx4 v[2:5], v[2:3] off sc1	
s_waitcnt vmcnt(0)
	;;#ASMEND
	v_mov_b32_e32 v7, 0
	v_and_b32_e32 v6, 0xff, v4
	s_mov_b64 s[10:11], 0
	v_cmp_eq_u64_e32 vcc, 0, v[6:7]
	s_and_saveexec_b64 s[8:9], vcc
	s_cbranch_execz .LBB19_6
; %bb.3:
	v_mov_b64_e32 v[8:9], s[12:13]
.LBB19_4:                               ; =>This Inner Loop Header: Depth=1
	;;#ASMSTART
	global_load_dwordx4 v[2:5], v[8:9] off sc1	
s_waitcnt vmcnt(0)
	;;#ASMEND
	s_nop 0
	v_and_b32_e32 v6, 0xff, v4
	v_cmp_ne_u64_e32 vcc, 0, v[6:7]
	s_or_b64 s[10:11], vcc, s[10:11]
	s_andn2_b64 exec, exec, s[10:11]
	s_cbranch_execnz .LBB19_4
; %bb.5:
	s_or_b64 exec, exec, s[10:11]
.LBB19_6:
	s_or_b64 exec, exec, s[8:9]
	v_mov_b32_e32 v1, 0
	global_store_dwordx2 v1, v[2:3], s[6:7]
.LBB19_7:
	s_or_b64 exec, exec, s[2:3]
.LBB19_8:
	v_cmp_eq_u32_e32 vcc, 0, v0
	s_and_saveexec_b64 s[2:3], vcc
	s_cbranch_execnz .LBB19_12
; %bb.9:
	s_or_b64 exec, exec, s[2:3]
	v_cmp_gt_u32_e32 vcc, s14, v0
	s_and_saveexec_b64 s[0:1], vcc
	s_cbranch_execnz .LBB19_13
.LBB19_10:
	s_or_b64 exec, exec, s[0:1]
	v_cmp_gt_u32_e32 vcc, 64, v0
	s_and_saveexec_b64 s[0:1], vcc
	s_cbranch_execnz .LBB19_14
.LBB19_11:
	s_endpgm
.LBB19_12:
	s_load_dwordx2 s[0:1], s[0:1], 0x10
	v_mov_b32_e32 v1, 0
	s_waitcnt lgkmcnt(0)
	global_store_dword v1, v1, s[0:1]
	s_or_b64 exec, exec, s[2:3]
	v_cmp_gt_u32_e32 vcc, s14, v0
	s_and_saveexec_b64 s[0:1], vcc
	s_cbranch_execz .LBB19_10
.LBB19_13:
	v_add_u32_e32 v2, 64, v0
	v_mov_b32_e32 v3, 0
	v_lshl_add_u64 v[6:7], v[2:3], 4, s[4:5]
	v_mov_b32_e32 v2, v3
	v_mov_b32_e32 v4, v3
	;; [unrolled: 1-line block ×3, first 2 shown]
	global_store_dwordx4 v[6:7], v[2:5], off
	s_or_b64 exec, exec, s[0:1]
	v_cmp_gt_u32_e32 vcc, 64, v0
	s_and_saveexec_b64 s[0:1], vcc
	s_cbranch_execz .LBB19_11
.LBB19_14:
	v_mov_b32_e32 v1, 0
	v_lshl_add_u64 v[4:5], v[0:1], 4, s[4:5]
	v_mov_b32_e32 v2, 0xff
	v_mov_b32_e32 v0, v1
	;; [unrolled: 1-line block ×3, first 2 shown]
	global_store_dwordx4 v[4:5], v[0:3], off
	s_endpgm
	.section	.rodata,"a",@progbits
	.p2align	6, 0x0
	.amdhsa_kernel _ZN7rocprim17ROCPRIM_400000_NS6detail31init_lookback_scan_state_kernelINS1_19lookback_scan_stateIlLb0ELb1EEENS1_16ordered_block_idIjEEEEvT_jT0_jPNS7_10value_typeE
		.amdhsa_group_segment_fixed_size 0
		.amdhsa_private_segment_fixed_size 0
		.amdhsa_kernarg_size 296
		.amdhsa_user_sgpr_count 2
		.amdhsa_user_sgpr_dispatch_ptr 0
		.amdhsa_user_sgpr_queue_ptr 0
		.amdhsa_user_sgpr_kernarg_segment_ptr 1
		.amdhsa_user_sgpr_dispatch_id 0
		.amdhsa_user_sgpr_kernarg_preload_length 0
		.amdhsa_user_sgpr_kernarg_preload_offset 0
		.amdhsa_user_sgpr_private_segment_size 0
		.amdhsa_uses_dynamic_stack 0
		.amdhsa_enable_private_segment 0
		.amdhsa_system_sgpr_workgroup_id_x 1
		.amdhsa_system_sgpr_workgroup_id_y 0
		.amdhsa_system_sgpr_workgroup_id_z 0
		.amdhsa_system_sgpr_workgroup_info 0
		.amdhsa_system_vgpr_workitem_id 0
		.amdhsa_next_free_vgpr 10
		.amdhsa_next_free_sgpr 15
		.amdhsa_accum_offset 12
		.amdhsa_reserve_vcc 1
		.amdhsa_float_round_mode_32 0
		.amdhsa_float_round_mode_16_64 0
		.amdhsa_float_denorm_mode_32 3
		.amdhsa_float_denorm_mode_16_64 3
		.amdhsa_dx10_clamp 1
		.amdhsa_ieee_mode 1
		.amdhsa_fp16_overflow 0
		.amdhsa_tg_split 0
		.amdhsa_exception_fp_ieee_invalid_op 0
		.amdhsa_exception_fp_denorm_src 0
		.amdhsa_exception_fp_ieee_div_zero 0
		.amdhsa_exception_fp_ieee_overflow 0
		.amdhsa_exception_fp_ieee_underflow 0
		.amdhsa_exception_fp_ieee_inexact 0
		.amdhsa_exception_int_div_zero 0
	.end_amdhsa_kernel
	.section	.text._ZN7rocprim17ROCPRIM_400000_NS6detail31init_lookback_scan_state_kernelINS1_19lookback_scan_stateIlLb0ELb1EEENS1_16ordered_block_idIjEEEEvT_jT0_jPNS7_10value_typeE,"axG",@progbits,_ZN7rocprim17ROCPRIM_400000_NS6detail31init_lookback_scan_state_kernelINS1_19lookback_scan_stateIlLb0ELb1EEENS1_16ordered_block_idIjEEEEvT_jT0_jPNS7_10value_typeE,comdat
.Lfunc_end19:
	.size	_ZN7rocprim17ROCPRIM_400000_NS6detail31init_lookback_scan_state_kernelINS1_19lookback_scan_stateIlLb0ELb1EEENS1_16ordered_block_idIjEEEEvT_jT0_jPNS7_10value_typeE, .Lfunc_end19-_ZN7rocprim17ROCPRIM_400000_NS6detail31init_lookback_scan_state_kernelINS1_19lookback_scan_stateIlLb0ELb1EEENS1_16ordered_block_idIjEEEEvT_jT0_jPNS7_10value_typeE
                                        ; -- End function
	.set _ZN7rocprim17ROCPRIM_400000_NS6detail31init_lookback_scan_state_kernelINS1_19lookback_scan_stateIlLb0ELb1EEENS1_16ordered_block_idIjEEEEvT_jT0_jPNS7_10value_typeE.num_vgpr, 10
	.set _ZN7rocprim17ROCPRIM_400000_NS6detail31init_lookback_scan_state_kernelINS1_19lookback_scan_stateIlLb0ELb1EEENS1_16ordered_block_idIjEEEEvT_jT0_jPNS7_10value_typeE.num_agpr, 0
	.set _ZN7rocprim17ROCPRIM_400000_NS6detail31init_lookback_scan_state_kernelINS1_19lookback_scan_stateIlLb0ELb1EEENS1_16ordered_block_idIjEEEEvT_jT0_jPNS7_10value_typeE.numbered_sgpr, 15
	.set _ZN7rocprim17ROCPRIM_400000_NS6detail31init_lookback_scan_state_kernelINS1_19lookback_scan_stateIlLb0ELb1EEENS1_16ordered_block_idIjEEEEvT_jT0_jPNS7_10value_typeE.num_named_barrier, 0
	.set _ZN7rocprim17ROCPRIM_400000_NS6detail31init_lookback_scan_state_kernelINS1_19lookback_scan_stateIlLb0ELb1EEENS1_16ordered_block_idIjEEEEvT_jT0_jPNS7_10value_typeE.private_seg_size, 0
	.set _ZN7rocprim17ROCPRIM_400000_NS6detail31init_lookback_scan_state_kernelINS1_19lookback_scan_stateIlLb0ELb1EEENS1_16ordered_block_idIjEEEEvT_jT0_jPNS7_10value_typeE.uses_vcc, 1
	.set _ZN7rocprim17ROCPRIM_400000_NS6detail31init_lookback_scan_state_kernelINS1_19lookback_scan_stateIlLb0ELb1EEENS1_16ordered_block_idIjEEEEvT_jT0_jPNS7_10value_typeE.uses_flat_scratch, 0
	.set _ZN7rocprim17ROCPRIM_400000_NS6detail31init_lookback_scan_state_kernelINS1_19lookback_scan_stateIlLb0ELb1EEENS1_16ordered_block_idIjEEEEvT_jT0_jPNS7_10value_typeE.has_dyn_sized_stack, 0
	.set _ZN7rocprim17ROCPRIM_400000_NS6detail31init_lookback_scan_state_kernelINS1_19lookback_scan_stateIlLb0ELb1EEENS1_16ordered_block_idIjEEEEvT_jT0_jPNS7_10value_typeE.has_recursion, 0
	.set _ZN7rocprim17ROCPRIM_400000_NS6detail31init_lookback_scan_state_kernelINS1_19lookback_scan_stateIlLb0ELb1EEENS1_16ordered_block_idIjEEEEvT_jT0_jPNS7_10value_typeE.has_indirect_call, 0
	.section	.AMDGPU.csdata,"",@progbits
; Kernel info:
; codeLenInByte = 444
; TotalNumSgprs: 21
; NumVgprs: 10
; NumAgprs: 0
; TotalNumVgprs: 10
; ScratchSize: 0
; MemoryBound: 0
; FloatMode: 240
; IeeeMode: 1
; LDSByteSize: 0 bytes/workgroup (compile time only)
; SGPRBlocks: 2
; VGPRBlocks: 1
; NumSGPRsForWavesPerEU: 21
; NumVGPRsForWavesPerEU: 10
; AccumOffset: 12
; Occupancy: 8
; WaveLimiterHint : 0
; COMPUTE_PGM_RSRC2:SCRATCH_EN: 0
; COMPUTE_PGM_RSRC2:USER_SGPR: 2
; COMPUTE_PGM_RSRC2:TRAP_HANDLER: 0
; COMPUTE_PGM_RSRC2:TGID_X_EN: 1
; COMPUTE_PGM_RSRC2:TGID_Y_EN: 0
; COMPUTE_PGM_RSRC2:TGID_Z_EN: 0
; COMPUTE_PGM_RSRC2:TIDIG_COMP_CNT: 0
; COMPUTE_PGM_RSRC3_GFX90A:ACCUM_OFFSET: 2
; COMPUTE_PGM_RSRC3_GFX90A:TG_SPLIT: 0
	.section	.text._ZN6thrust23THRUST_200600_302600_NS11hip_rocprim14__parallel_for6kernelILj256EZNS1_16__set_operations9doit_stepILb0ENS0_6detail15normal_iteratorINS0_10device_ptrIKiEEEESB_PiSC_lNS7_INS8_IiEEEESC_NS0_4lessIiEENS4_16serial_set_unionEEE10hipError_tPvRmT0_T1_T2_T3_T4_SP_T5_T6_PSP_T7_T8_P12ihipStream_tbEUllE_jLj1EEEvSL_SM_SM_,"axG",@progbits,_ZN6thrust23THRUST_200600_302600_NS11hip_rocprim14__parallel_for6kernelILj256EZNS1_16__set_operations9doit_stepILb0ENS0_6detail15normal_iteratorINS0_10device_ptrIKiEEEESB_PiSC_lNS7_INS8_IiEEEESC_NS0_4lessIiEENS4_16serial_set_unionEEE10hipError_tPvRmT0_T1_T2_T3_T4_SP_T5_T6_PSP_T7_T8_P12ihipStream_tbEUllE_jLj1EEEvSL_SM_SM_,comdat
	.protected	_ZN6thrust23THRUST_200600_302600_NS11hip_rocprim14__parallel_for6kernelILj256EZNS1_16__set_operations9doit_stepILb0ENS0_6detail15normal_iteratorINS0_10device_ptrIKiEEEESB_PiSC_lNS7_INS8_IiEEEESC_NS0_4lessIiEENS4_16serial_set_unionEEE10hipError_tPvRmT0_T1_T2_T3_T4_SP_T5_T6_PSP_T7_T8_P12ihipStream_tbEUllE_jLj1EEEvSL_SM_SM_ ; -- Begin function _ZN6thrust23THRUST_200600_302600_NS11hip_rocprim14__parallel_for6kernelILj256EZNS1_16__set_operations9doit_stepILb0ENS0_6detail15normal_iteratorINS0_10device_ptrIKiEEEESB_PiSC_lNS7_INS8_IiEEEESC_NS0_4lessIiEENS4_16serial_set_unionEEE10hipError_tPvRmT0_T1_T2_T3_T4_SP_T5_T6_PSP_T7_T8_P12ihipStream_tbEUllE_jLj1EEEvSL_SM_SM_
	.globl	_ZN6thrust23THRUST_200600_302600_NS11hip_rocprim14__parallel_for6kernelILj256EZNS1_16__set_operations9doit_stepILb0ENS0_6detail15normal_iteratorINS0_10device_ptrIKiEEEESB_PiSC_lNS7_INS8_IiEEEESC_NS0_4lessIiEENS4_16serial_set_unionEEE10hipError_tPvRmT0_T1_T2_T3_T4_SP_T5_T6_PSP_T7_T8_P12ihipStream_tbEUllE_jLj1EEEvSL_SM_SM_
	.p2align	8
	.type	_ZN6thrust23THRUST_200600_302600_NS11hip_rocprim14__parallel_for6kernelILj256EZNS1_16__set_operations9doit_stepILb0ENS0_6detail15normal_iteratorINS0_10device_ptrIKiEEEESB_PiSC_lNS7_INS8_IiEEEESC_NS0_4lessIiEENS4_16serial_set_unionEEE10hipError_tPvRmT0_T1_T2_T3_T4_SP_T5_T6_PSP_T7_T8_P12ihipStream_tbEUllE_jLj1EEEvSL_SM_SM_,@function
_ZN6thrust23THRUST_200600_302600_NS11hip_rocprim14__parallel_for6kernelILj256EZNS1_16__set_operations9doit_stepILb0ENS0_6detail15normal_iteratorINS0_10device_ptrIKiEEEESB_PiSC_lNS7_INS8_IiEEEESC_NS0_4lessIiEENS4_16serial_set_unionEEE10hipError_tPvRmT0_T1_T2_T3_T4_SP_T5_T6_PSP_T7_T8_P12ihipStream_tbEUllE_jLj1EEEvSL_SM_SM_: ; @_ZN6thrust23THRUST_200600_302600_NS11hip_rocprim14__parallel_for6kernelILj256EZNS1_16__set_operations9doit_stepILb0ENS0_6detail15normal_iteratorINS0_10device_ptrIKiEEEESB_PiSC_lNS7_INS8_IiEEEESC_NS0_4lessIiEENS4_16serial_set_unionEEE10hipError_tPvRmT0_T1_T2_T3_T4_SP_T5_T6_PSP_T7_T8_P12ihipStream_tbEUllE_jLj1EEEvSL_SM_SM_
; %bb.0:
	s_load_dwordx2 s[14:15], s[0:1], 0x30
	s_load_dwordx2 s[12:13], s[0:1], 0x20
	s_load_dwordx8 s[4:11], s[0:1], 0x0
	s_lshl_b32 s0, s2, 8
	s_waitcnt lgkmcnt(0)
	s_add_i32 s18, s15, s0
	s_sub_i32 s2, s14, s18
	s_cmpk_gt_u32 s2, 0xff
	s_mov_b64 s[0:1], -1
	s_cbranch_scc0 .LBB20_3
; %bb.1:
	s_andn2_b64 vcc, exec, s[0:1]
	s_cbranch_vccz .LBB20_40
.LBB20_2:
	s_endpgm
.LBB20_3:
	v_cmp_gt_u32_e32 vcc, s2, v0
	s_and_saveexec_b64 s[2:3], vcc
	s_cbranch_execz .LBB20_39
; %bb.4:
	v_add_u32_e32 v4, s18, v0
	s_movk_i32 s0, 0xfff
	v_mad_u64_u32 v[2:3], s[0:1], v4, s0, 0
	s_add_u32 s0, s6, s4
	s_addc_u32 s1, s7, s5
	v_mov_b32_e32 v1, s1
	v_cmp_lt_i64_e32 vcc, s[0:1], v[2:3]
	v_mov_b32_e32 v5, 0
	s_nop 0
	v_cndmask_b32_e32 v7, v3, v1, vcc
	v_mov_b32_e32 v1, s0
	v_cndmask_b32_e32 v6, v2, v1, vcc
	v_mov_b32_e32 v1, s7
	v_subrev_co_u32_e32 v2, vcc, s6, v6
	s_mov_b64 s[0:1], 0
	s_nop 0
	v_subb_co_u32_e32 v3, vcc, v7, v1, vcc
	v_cmp_lt_i64_e32 vcc, 0, v[2:3]
	v_mov_b32_e32 v1, s5
	s_nop 0
	v_cndmask_b32_e32 v3, 0, v3, vcc
	v_cndmask_b32_e32 v2, 0, v2, vcc
	v_cmp_lt_i64_e32 vcc, s[4:5], v[6:7]
	s_nop 1
	v_cndmask_b32_e32 v9, v7, v1, vcc
	v_mov_b32_e32 v1, s4
	v_cndmask_b32_e32 v8, v6, v1, vcc
	v_cmp_lt_i64_e32 vcc, v[2:3], v[8:9]
	s_and_saveexec_b64 s[14:15], vcc
	s_cbranch_execz .LBB20_8
; %bb.5:
	v_lshl_add_u64 v[10:11], v[6:7], 2, s[12:13]
.LBB20_6:                               ; =>This Inner Loop Header: Depth=1
	v_lshl_add_u64 v[12:13], v[8:9], 0, v[2:3]
	v_lshrrev_b64 v[12:13], 1, v[12:13]
	v_lshlrev_b64 v[14:15], 2, v[12:13]
	v_lshl_add_u64 v[16:17], s[10:11], 0, v[14:15]
	v_xor_b32_e32 v15, -1, v15
	v_xor_b32_e32 v14, -4, v14
	v_lshl_add_u64 v[14:15], v[10:11], 0, v[14:15]
	global_load_dword v1, v[16:17], off
	s_nop 0
	global_load_dword v16, v[14:15], off
	v_lshl_add_u64 v[14:15], v[12:13], 0, 1
	s_waitcnt vmcnt(0)
	v_cmp_lt_i32_e32 vcc, v16, v1
	s_nop 1
	v_cndmask_b32_e32 v9, v9, v13, vcc
	v_cndmask_b32_e32 v8, v8, v12, vcc
	;; [unrolled: 1-line block ×4, first 2 shown]
	v_cmp_ge_i64_e32 vcc, v[2:3], v[8:9]
	s_or_b64 s[0:1], vcc, s[0:1]
	s_andn2_b64 exec, exec, s[0:1]
	s_cbranch_execnz .LBB20_6
; %bb.7:
	s_or_b64 exec, exec, s[0:1]
.LBB20_8:
	s_or_b64 exec, exec, s[14:15]
	v_sub_co_u32_e32 v12, vcc, v6, v2
	v_mov_b64_e32 v[10:11], 0
	s_nop 0
	v_subb_co_u32_e32 v13, vcc, v7, v3, vcc
	v_cmp_gt_i64_e32 vcc, s[6:7], v[12:13]
	s_and_saveexec_b64 s[14:15], vcc
	s_cbranch_execz .LBB20_38
; %bb.9:
	v_lshl_add_u64 v[10:11], v[12:13], 2, s[12:13]
	global_load_dword v1, v[10:11], off
	v_mov_b64_e32 v[8:9], 0
	v_cmp_lt_i64_e32 vcc, 0, v[2:3]
	v_mov_b64_e32 v[14:15], 0
	s_and_saveexec_b64 s[0:1], vcc
	s_cbranch_execnz .LBB20_14
; %bb.10:
	s_or_b64 exec, exec, s[0:1]
	v_cmp_lt_u64_e32 vcc, v[8:9], v[14:15]
	s_and_saveexec_b64 s[0:1], vcc
	s_cbranch_execnz .LBB20_15
.LBB20_11:
	s_or_b64 exec, exec, s[0:1]
	v_cmp_lt_u64_e32 vcc, v[8:9], v[14:15]
	s_and_saveexec_b64 s[0:1], vcc
	s_cbranch_execnz .LBB20_16
.LBB20_12:
	s_or_b64 exec, exec, s[0:1]
	v_cmp_lt_u64_e32 vcc, v[8:9], v[14:15]
	s_and_saveexec_b64 s[0:1], vcc
	s_cbranch_execnz .LBB20_17
.LBB20_13:
	s_or_b64 exec, exec, s[0:1]
	v_cmp_lt_u64_e32 vcc, v[8:9], v[14:15]
	s_and_saveexec_b64 s[0:1], vcc
	s_cbranch_execnz .LBB20_18
	s_branch .LBB20_21
.LBB20_14:
	s_movk_i32 s19, 0x1ff
	v_mad_u64_u32 v[8:9], s[16:17], v2, s19, 0
	v_mov_b32_e32 v14, v9
	v_mad_u64_u32 v[14:15], s[16:17], v3, s19, v[14:15]
	v_mov_b32_e32 v9, v14
	v_lshrrev_b64 v[14:15], 9, v[8:9]
	v_lshl_add_u64 v[8:9], v[14:15], 2, s[10:11]
	global_load_dword v16, v[8:9], off
	v_lshl_add_u64 v[8:9], v[14:15], 0, 1
	s_waitcnt vmcnt(0)
	v_cmp_lt_i32_e32 vcc, v16, v1
	s_nop 1
	v_cndmask_b32_e32 v9, 0, v9, vcc
	v_cndmask_b32_e32 v8, 0, v8, vcc
	;; [unrolled: 1-line block ×4, first 2 shown]
	s_or_b64 exec, exec, s[0:1]
	v_cmp_lt_u64_e32 vcc, v[8:9], v[14:15]
	s_and_saveexec_b64 s[0:1], vcc
	s_cbranch_execz .LBB20_11
.LBB20_15:
	s_movk_i32 s19, 0x7f
	v_mad_u64_u32 v[16:17], s[16:17], v14, s19, v[8:9]
	v_mov_b32_e32 v18, v17
	v_mad_u64_u32 v[18:19], s[16:17], v15, s19, v[18:19]
	v_mov_b32_e32 v17, v18
	v_lshrrev_b64 v[16:17], 7, v[16:17]
	v_lshl_add_u64 v[18:19], v[16:17], 2, s[10:11]
	global_load_dword v20, v[18:19], off
	v_lshl_add_u64 v[18:19], v[16:17], 0, 1
	s_waitcnt vmcnt(0)
	v_cmp_lt_i32_e32 vcc, v20, v1
	s_nop 1
	v_cndmask_b32_e32 v9, v9, v19, vcc
	v_cndmask_b32_e32 v8, v8, v18, vcc
	;; [unrolled: 1-line block ×4, first 2 shown]
	s_or_b64 exec, exec, s[0:1]
	v_cmp_lt_u64_e32 vcc, v[8:9], v[14:15]
	s_and_saveexec_b64 s[0:1], vcc
	s_cbranch_execz .LBB20_12
.LBB20_16:
	v_mad_u64_u32 v[16:17], s[16:17], v14, 31, v[8:9]
	v_mov_b32_e32 v18, v17
	v_mad_u64_u32 v[18:19], s[16:17], v15, 31, v[18:19]
	v_mov_b32_e32 v17, v18
	v_lshrrev_b64 v[16:17], 5, v[16:17]
	v_lshl_add_u64 v[18:19], v[16:17], 2, s[10:11]
	global_load_dword v20, v[18:19], off
	v_lshl_add_u64 v[18:19], v[16:17], 0, 1
	s_waitcnt vmcnt(0)
	v_cmp_lt_i32_e32 vcc, v20, v1
	s_nop 1
	v_cndmask_b32_e32 v9, v9, v19, vcc
	v_cndmask_b32_e32 v8, v8, v18, vcc
	;; [unrolled: 1-line block ×4, first 2 shown]
	s_or_b64 exec, exec, s[0:1]
	v_cmp_lt_u64_e32 vcc, v[8:9], v[14:15]
	s_and_saveexec_b64 s[0:1], vcc
	s_cbranch_execz .LBB20_13
.LBB20_17:
	v_mad_u64_u32 v[16:17], s[16:17], v14, 15, v[8:9]
	v_mov_b32_e32 v18, v17
	v_mad_u64_u32 v[18:19], s[16:17], v15, 15, v[18:19]
	v_mov_b32_e32 v17, v18
	v_lshrrev_b64 v[16:17], 4, v[16:17]
	v_lshl_add_u64 v[18:19], v[16:17], 2, s[10:11]
	global_load_dword v20, v[18:19], off
	v_lshl_add_u64 v[18:19], v[16:17], 0, 1
	s_waitcnt vmcnt(0)
	v_cmp_lt_i32_e32 vcc, v20, v1
	s_nop 1
	v_cndmask_b32_e32 v9, v9, v19, vcc
	v_cndmask_b32_e32 v8, v8, v18, vcc
	;; [unrolled: 1-line block ×4, first 2 shown]
	s_or_b64 exec, exec, s[0:1]
	v_cmp_lt_u64_e32 vcc, v[8:9], v[14:15]
	s_and_saveexec_b64 s[0:1], vcc
	s_cbranch_execz .LBB20_21
.LBB20_18:
	s_mov_b64 s[16:17], 0
.LBB20_19:                              ; =>This Inner Loop Header: Depth=1
	v_lshl_add_u64 v[16:17], v[8:9], 0, v[14:15]
	v_lshrrev_b64 v[16:17], 1, v[16:17]
	v_lshl_add_u64 v[18:19], v[16:17], 2, s[10:11]
	global_load_dword v20, v[18:19], off
	v_lshl_add_u64 v[18:19], v[16:17], 0, 1
	s_waitcnt vmcnt(0)
	v_cmp_lt_i32_e32 vcc, v20, v1
	s_nop 1
	v_cndmask_b32_e32 v9, v9, v19, vcc
	v_cndmask_b32_e32 v8, v8, v18, vcc
	;; [unrolled: 1-line block ×4, first 2 shown]
	v_cmp_ge_i64_e32 vcc, v[8:9], v[14:15]
	s_or_b64 s[16:17], vcc, s[16:17]
	s_andn2_b64 exec, exec, s[16:17]
	s_cbranch_execnz .LBB20_19
; %bb.20:
	s_or_b64 exec, exec, s[16:17]
.LBB20_21:
	s_or_b64 exec, exec, s[0:1]
	v_mov_b64_e32 v[14:15], 0
	v_cmp_lt_i64_e32 vcc, 0, v[12:13]
	v_mov_b64_e32 v[16:17], v[12:13]
	s_and_saveexec_b64 s[0:1], vcc
	s_cbranch_execnz .LBB20_26
; %bb.22:
	s_or_b64 exec, exec, s[0:1]
	v_cmp_lt_i64_e32 vcc, v[14:15], v[16:17]
	s_and_saveexec_b64 s[0:1], vcc
	s_cbranch_execnz .LBB20_27
.LBB20_23:
	s_or_b64 exec, exec, s[0:1]
	v_cmp_lt_i64_e32 vcc, v[14:15], v[16:17]
	s_and_saveexec_b64 s[0:1], vcc
	s_cbranch_execnz .LBB20_28
.LBB20_24:
	s_or_b64 exec, exec, s[0:1]
	v_cmp_lt_i64_e32 vcc, v[14:15], v[16:17]
	s_and_saveexec_b64 s[0:1], vcc
	s_cbranch_execnz .LBB20_29
.LBB20_25:
	s_or_b64 exec, exec, s[0:1]
	v_cmp_lt_i64_e32 vcc, v[14:15], v[16:17]
	s_and_saveexec_b64 s[0:1], vcc
	s_cbranch_execnz .LBB20_30
	s_branch .LBB20_33
.LBB20_26:
	s_movk_i32 s19, 0x1ff
	v_mad_u64_u32 v[14:15], s[16:17], v12, s19, 0
	v_mov_b32_e32 v16, v15
	v_mad_u64_u32 v[16:17], s[16:17], v13, s19, v[16:17]
	v_mov_b32_e32 v15, v16
	v_lshrrev_b64 v[16:17], 9, v[14:15]
	v_lshl_add_u64 v[14:15], v[16:17], 2, s[12:13]
	global_load_dword v18, v[14:15], off
	v_lshl_add_u64 v[14:15], v[16:17], 0, 1
	s_waitcnt vmcnt(0)
	v_cmp_lt_i32_e32 vcc, v18, v1
	s_nop 1
	v_cndmask_b32_e32 v15, 0, v15, vcc
	v_cndmask_b32_e32 v14, 0, v14, vcc
	;; [unrolled: 1-line block ×4, first 2 shown]
	s_or_b64 exec, exec, s[0:1]
	v_cmp_lt_i64_e32 vcc, v[14:15], v[16:17]
	s_and_saveexec_b64 s[0:1], vcc
	s_cbranch_execz .LBB20_23
.LBB20_27:
	s_movk_i32 s19, 0x7f
	v_mad_u64_u32 v[18:19], s[16:17], v16, s19, v[14:15]
	v_mov_b32_e32 v20, v19
	v_mad_u64_u32 v[20:21], s[16:17], v17, s19, v[20:21]
	v_mov_b32_e32 v19, v20
	v_lshrrev_b64 v[18:19], 7, v[18:19]
	v_lshl_add_u64 v[20:21], v[18:19], 2, s[12:13]
	global_load_dword v22, v[20:21], off
	v_lshl_add_u64 v[20:21], v[18:19], 0, 1
	s_waitcnt vmcnt(0)
	v_cmp_lt_i32_e32 vcc, v22, v1
	s_nop 1
	v_cndmask_b32_e32 v15, v15, v21, vcc
	v_cndmask_b32_e32 v14, v14, v20, vcc
	;; [unrolled: 1-line block ×4, first 2 shown]
	s_or_b64 exec, exec, s[0:1]
	v_cmp_lt_i64_e32 vcc, v[14:15], v[16:17]
	s_and_saveexec_b64 s[0:1], vcc
	s_cbranch_execz .LBB20_24
.LBB20_28:
	v_mad_u64_u32 v[18:19], s[16:17], v16, 31, v[14:15]
	v_mov_b32_e32 v20, v19
	v_mad_u64_u32 v[20:21], s[16:17], v17, 31, v[20:21]
	v_mov_b32_e32 v19, v20
	v_lshrrev_b64 v[18:19], 5, v[18:19]
	v_lshl_add_u64 v[20:21], v[18:19], 2, s[12:13]
	global_load_dword v22, v[20:21], off
	v_lshl_add_u64 v[20:21], v[18:19], 0, 1
	s_waitcnt vmcnt(0)
	v_cmp_lt_i32_e32 vcc, v22, v1
	s_nop 1
	v_cndmask_b32_e32 v15, v15, v21, vcc
	v_cndmask_b32_e32 v14, v14, v20, vcc
	;; [unrolled: 1-line block ×4, first 2 shown]
	s_or_b64 exec, exec, s[0:1]
	v_cmp_lt_i64_e32 vcc, v[14:15], v[16:17]
	s_and_saveexec_b64 s[0:1], vcc
	s_cbranch_execz .LBB20_25
.LBB20_29:
	v_mad_u64_u32 v[18:19], s[16:17], v16, 15, v[14:15]
	v_mov_b32_e32 v20, v19
	v_mad_u64_u32 v[20:21], s[16:17], v17, 15, v[20:21]
	v_mov_b32_e32 v19, v20
	v_lshrrev_b64 v[18:19], 4, v[18:19]
	v_lshl_add_u64 v[20:21], v[18:19], 2, s[12:13]
	global_load_dword v22, v[20:21], off
	v_lshl_add_u64 v[20:21], v[18:19], 0, 1
	s_waitcnt vmcnt(0)
	v_cmp_lt_i32_e32 vcc, v22, v1
	s_nop 1
	v_cndmask_b32_e32 v15, v15, v21, vcc
	v_cndmask_b32_e32 v14, v14, v20, vcc
	;; [unrolled: 1-line block ×4, first 2 shown]
	s_or_b64 exec, exec, s[0:1]
	v_cmp_lt_i64_e32 vcc, v[14:15], v[16:17]
	s_and_saveexec_b64 s[0:1], vcc
	s_cbranch_execz .LBB20_33
.LBB20_30:
	s_mov_b64 s[16:17], 0
.LBB20_31:                              ; =>This Inner Loop Header: Depth=1
	v_lshl_add_u64 v[18:19], v[14:15], 0, v[16:17]
	v_lshrrev_b64 v[18:19], 1, v[18:19]
	v_lshl_add_u64 v[20:21], v[18:19], 2, s[12:13]
	global_load_dword v22, v[20:21], off
	v_lshl_add_u64 v[20:21], v[18:19], 0, 1
	s_waitcnt vmcnt(0)
	v_cmp_lt_i32_e32 vcc, v22, v1
	s_nop 1
	v_cndmask_b32_e32 v15, v15, v21, vcc
	v_cndmask_b32_e32 v14, v14, v20, vcc
	;; [unrolled: 1-line block ×4, first 2 shown]
	v_cmp_ge_i64_e32 vcc, v[14:15], v[16:17]
	s_or_b64 s[16:17], vcc, s[16:17]
	s_andn2_b64 exec, exec, s[16:17]
	s_cbranch_execnz .LBB20_31
; %bb.32:
	s_or_b64 exec, exec, s[16:17]
.LBB20_33:
	s_or_b64 exec, exec, s[0:1]
	v_sub_co_u32_e32 v2, vcc, v2, v8
	v_mov_b32_e32 v20, s7
	s_nop 0
	v_subb_co_u32_e32 v3, vcc, v3, v9, vcc
	v_sub_co_u32_e32 v18, vcc, v12, v14
	s_nop 1
	v_subb_co_u32_e32 v19, vcc, v13, v15, vcc
	v_lshl_add_u64 v[16:17], v[18:19], 0, v[2:3]
	v_ashrrev_i64 v[2:3], 1, v[16:17]
	v_cmp_gt_i64_e32 vcc, v[2:3], v[18:19]
	s_nop 1
	v_cndmask_b32_e32 v3, v19, v3, vcc
	v_cndmask_b32_e32 v2, v18, v2, vcc
	v_lshl_add_u64 v[14:15], v[14:15], 0, v[2:3]
	v_lshl_add_u64 v[14:15], v[14:15], 0, 1
	v_cmp_gt_i64_e32 vcc, s[6:7], v[14:15]
	s_nop 1
	v_cndmask_b32_e32 v15, v20, v15, vcc
	v_mov_b32_e32 v20, s6
	v_cndmask_b32_e32 v14, v20, v14, vcc
	v_sub_co_u32_e32 v14, vcc, v14, v12
	s_nop 1
	v_subb_co_u32_e32 v15, vcc, v15, v13, vcc
	v_mov_b64_e32 v[12:13], 0
	v_cmp_lt_i64_e32 vcc, 0, v[14:15]
	s_and_saveexec_b64 s[0:1], vcc
	s_cbranch_execz .LBB20_37
; %bb.34:
	s_mov_b64 s[16:17], 0
	v_mov_b64_e32 v[12:13], 0
.LBB20_35:                              ; =>This Inner Loop Header: Depth=1
	v_lshl_add_u64 v[20:21], v[12:13], 0, v[14:15]
	v_lshrrev_b64 v[20:21], 1, v[20:21]
	v_lshl_add_u64 v[22:23], v[20:21], 2, v[10:11]
	global_load_dword v24, v[22:23], off
	v_lshl_add_u64 v[22:23], v[20:21], 0, 1
	s_waitcnt vmcnt(0)
	v_cmp_lt_i32_e32 vcc, v1, v24
	s_nop 1
	v_cndmask_b32_e32 v13, v23, v13, vcc
	v_cndmask_b32_e32 v12, v22, v12, vcc
	;; [unrolled: 1-line block ×4, first 2 shown]
	v_cmp_ge_i64_e32 vcc, v[12:13], v[14:15]
	s_or_b64 s[16:17], vcc, s[16:17]
	s_andn2_b64 exec, exec, s[16:17]
	s_cbranch_execnz .LBB20_35
; %bb.36:
	s_or_b64 exec, exec, s[16:17]
	v_ashrrev_i32_e32 v13, 31, v12
.LBB20_37:
	s_or_b64 exec, exec, s[0:1]
	v_lshl_add_u64 v[10:11], v[12:13], 0, v[18:19]
	v_cmp_lt_i64_e32 vcc, v[10:11], v[2:3]
	v_cmp_lt_i64_e64 s[0:1], v[2:3], v[10:11]
	s_nop 0
	v_cndmask_b32_e32 v12, v2, v10, vcc
	v_cndmask_b32_e32 v13, v3, v11, vcc
	v_sub_co_u32_e32 v14, vcc, v16, v12
	s_nop 1
	v_subb_co_u32_e32 v15, vcc, v17, v13, vcc
	v_lshl_add_u64 v[12:13], v[12:13], 0, 1
	v_cmp_eq_u64_e32 vcc, v[14:15], v[12:13]
	s_and_b64 s[0:1], vcc, s[0:1]
	v_cndmask_b32_e64 v10, 0, 1, s[0:1]
	s_mov_b32 s0, 0
	v_mov_b32_e32 v11, s0
	v_lshl_add_u64 v[2:3], v[14:15], 0, v[8:9]
.LBB20_38:
	s_or_b64 exec, exec, s[14:15]
	v_lshl_add_u64 v[8:9], v[4:5], 4, s[8:9]
	v_lshl_add_u64 v[4:5], v[10:11], 0, v[6:7]
	v_sub_co_u32_e32 v4, vcc, v4, v2
	s_nop 1
	v_subb_co_u32_e32 v5, vcc, v5, v3, vcc
	global_store_dwordx4 v[8:9], v[2:5], off
.LBB20_39:
	s_or_b64 exec, exec, s[2:3]
	s_cbranch_execnz .LBB20_2
.LBB20_40:
	v_add_u32_e32 v2, s18, v0
	s_movk_i32 s0, 0xfff
	s_waitcnt vmcnt(1)
	v_mad_u64_u32 v[0:1], s[0:1], v2, s0, 0
	s_add_u32 s0, s6, s4
	s_addc_u32 s1, s7, s5
	v_mov_b32_e32 v4, s1
	v_cmp_lt_i64_e32 vcc, s[0:1], v[0:1]
	v_mov_b32_e32 v6, s5
	v_mov_b32_e32 v3, 0
	v_cndmask_b32_e32 v5, v1, v4, vcc
	v_mov_b32_e32 v1, s0
	v_cndmask_b32_e32 v4, v0, v1, vcc
	v_mov_b32_e32 v1, s7
	v_subrev_co_u32_e32 v0, vcc, s6, v4
	s_mov_b64 s[0:1], 0
	s_nop 0
	v_subb_co_u32_e32 v1, vcc, v5, v1, vcc
	v_cmp_lt_i64_e32 vcc, 0, v[0:1]
	s_nop 1
	v_cndmask_b32_e32 v1, 0, v1, vcc
	v_cndmask_b32_e32 v0, 0, v0, vcc
	v_cmp_lt_i64_e32 vcc, s[4:5], v[4:5]
	s_nop 1
	v_cndmask_b32_e32 v7, v5, v6, vcc
	v_mov_b32_e32 v6, s4
	v_cndmask_b32_e32 v6, v4, v6, vcc
	v_cmp_lt_i64_e32 vcc, v[0:1], v[6:7]
	s_and_saveexec_b64 s[2:3], vcc
	s_cbranch_execz .LBB20_44
; %bb.41:
	v_lshl_add_u64 v[8:9], v[4:5], 2, s[12:13]
.LBB20_42:                              ; =>This Inner Loop Header: Depth=1
	v_lshl_add_u64 v[10:11], v[6:7], 0, v[0:1]
	v_lshrrev_b64 v[10:11], 1, v[10:11]
	v_lshlrev_b64 v[12:13], 2, v[10:11]
	v_lshl_add_u64 v[14:15], s[10:11], 0, v[12:13]
	v_xor_b32_e32 v13, -1, v13
	v_xor_b32_e32 v12, -4, v12
	v_lshl_add_u64 v[12:13], v[8:9], 0, v[12:13]
	global_load_dword v14, v[14:15], off
	s_nop 0
	global_load_dword v15, v[12:13], off
	v_lshl_add_u64 v[12:13], v[10:11], 0, 1
	s_waitcnt vmcnt(0)
	v_cmp_lt_i32_e32 vcc, v15, v14
	s_nop 1
	v_cndmask_b32_e32 v7, v7, v11, vcc
	v_cndmask_b32_e32 v6, v6, v10, vcc
	;; [unrolled: 1-line block ×4, first 2 shown]
	v_cmp_ge_i64_e32 vcc, v[0:1], v[6:7]
	s_or_b64 s[0:1], vcc, s[0:1]
	s_andn2_b64 exec, exec, s[0:1]
	s_cbranch_execnz .LBB20_42
; %bb.43:
	s_or_b64 exec, exec, s[0:1]
.LBB20_44:
	s_or_b64 exec, exec, s[2:3]
	v_sub_co_u32_e32 v10, vcc, v4, v0
	v_mov_b64_e32 v[8:9], 0
	s_nop 0
	v_subb_co_u32_e32 v11, vcc, v5, v1, vcc
	v_cmp_gt_i64_e32 vcc, s[6:7], v[10:11]
	s_and_saveexec_b64 s[2:3], vcc
	s_cbranch_execz .LBB20_74
; %bb.45:
	v_lshl_add_u64 v[8:9], v[10:11], 2, s[12:13]
	global_load_dword v18, v[8:9], off
	v_mov_b64_e32 v[6:7], 0
	v_cmp_lt_i64_e32 vcc, 0, v[0:1]
	v_mov_b64_e32 v[12:13], 0
	s_and_saveexec_b64 s[0:1], vcc
	s_cbranch_execnz .LBB20_50
; %bb.46:
	s_or_b64 exec, exec, s[0:1]
	v_cmp_lt_u64_e32 vcc, v[6:7], v[12:13]
	s_and_saveexec_b64 s[0:1], vcc
	s_cbranch_execnz .LBB20_51
.LBB20_47:
	s_or_b64 exec, exec, s[0:1]
	v_cmp_lt_u64_e32 vcc, v[6:7], v[12:13]
	s_and_saveexec_b64 s[0:1], vcc
	s_cbranch_execnz .LBB20_52
.LBB20_48:
	s_or_b64 exec, exec, s[0:1]
	v_cmp_lt_u64_e32 vcc, v[6:7], v[12:13]
	s_and_saveexec_b64 s[0:1], vcc
	s_cbranch_execnz .LBB20_53
.LBB20_49:
	s_or_b64 exec, exec, s[0:1]
	v_cmp_lt_u64_e32 vcc, v[6:7], v[12:13]
	s_and_saveexec_b64 s[0:1], vcc
	s_cbranch_execnz .LBB20_54
	s_branch .LBB20_57
.LBB20_50:
	s_movk_i32 s14, 0x1ff
	v_mad_u64_u32 v[6:7], s[4:5], v0, s14, 0
	v_mov_b32_e32 v12, v7
	v_mad_u64_u32 v[12:13], s[4:5], v1, s14, v[12:13]
	v_mov_b32_e32 v7, v12
	v_lshrrev_b64 v[12:13], 9, v[6:7]
	v_lshl_add_u64 v[6:7], v[12:13], 2, s[10:11]
	global_load_dword v14, v[6:7], off
	v_lshl_add_u64 v[6:7], v[12:13], 0, 1
	s_waitcnt vmcnt(0)
	v_cmp_lt_i32_e32 vcc, v14, v18
	s_nop 1
	v_cndmask_b32_e32 v7, 0, v7, vcc
	v_cndmask_b32_e32 v6, 0, v6, vcc
	;; [unrolled: 1-line block ×4, first 2 shown]
	s_or_b64 exec, exec, s[0:1]
	v_cmp_lt_u64_e32 vcc, v[6:7], v[12:13]
	s_and_saveexec_b64 s[0:1], vcc
	s_cbranch_execz .LBB20_47
.LBB20_51:
	s_movk_i32 s14, 0x7f
	v_mad_u64_u32 v[14:15], s[4:5], v12, s14, v[6:7]
	v_mov_b32_e32 v16, v15
	v_mad_u64_u32 v[16:17], s[4:5], v13, s14, v[16:17]
	v_mov_b32_e32 v15, v16
	v_lshrrev_b64 v[14:15], 7, v[14:15]
	v_lshl_add_u64 v[16:17], v[14:15], 2, s[10:11]
	global_load_dword v19, v[16:17], off
	v_lshl_add_u64 v[16:17], v[14:15], 0, 1
	s_waitcnt vmcnt(0)
	v_cmp_lt_i32_e32 vcc, v19, v18
	s_nop 1
	v_cndmask_b32_e32 v7, v7, v17, vcc
	v_cndmask_b32_e32 v6, v6, v16, vcc
	;; [unrolled: 1-line block ×4, first 2 shown]
	s_or_b64 exec, exec, s[0:1]
	v_cmp_lt_u64_e32 vcc, v[6:7], v[12:13]
	s_and_saveexec_b64 s[0:1], vcc
	s_cbranch_execz .LBB20_48
.LBB20_52:
	v_mad_u64_u32 v[14:15], s[4:5], v12, 31, v[6:7]
	v_mov_b32_e32 v16, v15
	v_mad_u64_u32 v[16:17], s[4:5], v13, 31, v[16:17]
	v_mov_b32_e32 v15, v16
	v_lshrrev_b64 v[14:15], 5, v[14:15]
	v_lshl_add_u64 v[16:17], v[14:15], 2, s[10:11]
	global_load_dword v19, v[16:17], off
	v_lshl_add_u64 v[16:17], v[14:15], 0, 1
	s_waitcnt vmcnt(0)
	v_cmp_lt_i32_e32 vcc, v19, v18
	s_nop 1
	v_cndmask_b32_e32 v7, v7, v17, vcc
	v_cndmask_b32_e32 v6, v6, v16, vcc
	;; [unrolled: 1-line block ×4, first 2 shown]
	s_or_b64 exec, exec, s[0:1]
	v_cmp_lt_u64_e32 vcc, v[6:7], v[12:13]
	s_and_saveexec_b64 s[0:1], vcc
	s_cbranch_execz .LBB20_49
.LBB20_53:
	v_mad_u64_u32 v[14:15], s[4:5], v12, 15, v[6:7]
	v_mov_b32_e32 v16, v15
	v_mad_u64_u32 v[16:17], s[4:5], v13, 15, v[16:17]
	v_mov_b32_e32 v15, v16
	v_lshrrev_b64 v[14:15], 4, v[14:15]
	v_lshl_add_u64 v[16:17], v[14:15], 2, s[10:11]
	global_load_dword v19, v[16:17], off
	v_lshl_add_u64 v[16:17], v[14:15], 0, 1
	s_waitcnt vmcnt(0)
	v_cmp_lt_i32_e32 vcc, v19, v18
	s_nop 1
	v_cndmask_b32_e32 v7, v7, v17, vcc
	v_cndmask_b32_e32 v6, v6, v16, vcc
	;; [unrolled: 1-line block ×4, first 2 shown]
	s_or_b64 exec, exec, s[0:1]
	v_cmp_lt_u64_e32 vcc, v[6:7], v[12:13]
	s_and_saveexec_b64 s[0:1], vcc
	s_cbranch_execz .LBB20_57
.LBB20_54:
	s_mov_b64 s[4:5], 0
.LBB20_55:                              ; =>This Inner Loop Header: Depth=1
	v_lshl_add_u64 v[14:15], v[6:7], 0, v[12:13]
	v_lshrrev_b64 v[14:15], 1, v[14:15]
	v_lshl_add_u64 v[16:17], v[14:15], 2, s[10:11]
	global_load_dword v19, v[16:17], off
	v_lshl_add_u64 v[16:17], v[14:15], 0, 1
	s_waitcnt vmcnt(0)
	v_cmp_lt_i32_e32 vcc, v19, v18
	s_nop 1
	v_cndmask_b32_e32 v7, v7, v17, vcc
	v_cndmask_b32_e32 v6, v6, v16, vcc
	;; [unrolled: 1-line block ×4, first 2 shown]
	v_cmp_ge_i64_e32 vcc, v[6:7], v[12:13]
	s_or_b64 s[4:5], vcc, s[4:5]
	s_andn2_b64 exec, exec, s[4:5]
	s_cbranch_execnz .LBB20_55
; %bb.56:
	s_or_b64 exec, exec, s[4:5]
.LBB20_57:
	s_or_b64 exec, exec, s[0:1]
	v_mov_b64_e32 v[12:13], 0
	v_cmp_lt_i64_e32 vcc, 0, v[10:11]
	v_mov_b64_e32 v[14:15], v[10:11]
	s_and_saveexec_b64 s[0:1], vcc
	s_cbranch_execnz .LBB20_62
; %bb.58:
	s_or_b64 exec, exec, s[0:1]
	v_cmp_lt_i64_e32 vcc, v[12:13], v[14:15]
	s_and_saveexec_b64 s[0:1], vcc
	s_cbranch_execnz .LBB20_63
.LBB20_59:
	s_or_b64 exec, exec, s[0:1]
	v_cmp_lt_i64_e32 vcc, v[12:13], v[14:15]
	s_and_saveexec_b64 s[0:1], vcc
	s_cbranch_execnz .LBB20_64
.LBB20_60:
	s_or_b64 exec, exec, s[0:1]
	v_cmp_lt_i64_e32 vcc, v[12:13], v[14:15]
	s_and_saveexec_b64 s[0:1], vcc
	s_cbranch_execnz .LBB20_65
.LBB20_61:
	s_or_b64 exec, exec, s[0:1]
	v_cmp_lt_i64_e32 vcc, v[12:13], v[14:15]
	s_and_saveexec_b64 s[0:1], vcc
	s_cbranch_execnz .LBB20_66
	s_branch .LBB20_69
.LBB20_62:
	s_movk_i32 s10, 0x1ff
	v_mad_u64_u32 v[12:13], s[4:5], v10, s10, 0
	v_mov_b32_e32 v14, v13
	v_mad_u64_u32 v[14:15], s[4:5], v11, s10, v[14:15]
	v_mov_b32_e32 v13, v14
	v_lshrrev_b64 v[14:15], 9, v[12:13]
	v_lshl_add_u64 v[12:13], v[14:15], 2, s[12:13]
	global_load_dword v16, v[12:13], off
	v_lshl_add_u64 v[12:13], v[14:15], 0, 1
	s_waitcnt vmcnt(0)
	v_cmp_lt_i32_e32 vcc, v16, v18
	s_nop 1
	v_cndmask_b32_e32 v13, 0, v13, vcc
	v_cndmask_b32_e32 v12, 0, v12, vcc
	;; [unrolled: 1-line block ×4, first 2 shown]
	s_or_b64 exec, exec, s[0:1]
	v_cmp_lt_i64_e32 vcc, v[12:13], v[14:15]
	s_and_saveexec_b64 s[0:1], vcc
	s_cbranch_execz .LBB20_59
.LBB20_63:
	s_movk_i32 s10, 0x7f
	v_mad_u64_u32 v[16:17], s[4:5], v14, s10, v[12:13]
	v_mov_b32_e32 v20, v17
	v_mad_u64_u32 v[20:21], s[4:5], v15, s10, v[20:21]
	v_mov_b32_e32 v17, v20
	v_lshrrev_b64 v[16:17], 7, v[16:17]
	v_lshl_add_u64 v[20:21], v[16:17], 2, s[12:13]
	global_load_dword v19, v[20:21], off
	v_lshl_add_u64 v[20:21], v[16:17], 0, 1
	s_waitcnt vmcnt(0)
	v_cmp_lt_i32_e32 vcc, v19, v18
	s_nop 1
	v_cndmask_b32_e32 v13, v13, v21, vcc
	v_cndmask_b32_e32 v12, v12, v20, vcc
	;; [unrolled: 1-line block ×4, first 2 shown]
	s_or_b64 exec, exec, s[0:1]
	v_cmp_lt_i64_e32 vcc, v[12:13], v[14:15]
	s_and_saveexec_b64 s[0:1], vcc
	s_cbranch_execz .LBB20_60
.LBB20_64:
	v_mad_u64_u32 v[16:17], s[4:5], v14, 31, v[12:13]
	v_mov_b32_e32 v20, v17
	v_mad_u64_u32 v[20:21], s[4:5], v15, 31, v[20:21]
	v_mov_b32_e32 v17, v20
	v_lshrrev_b64 v[16:17], 5, v[16:17]
	v_lshl_add_u64 v[20:21], v[16:17], 2, s[12:13]
	global_load_dword v19, v[20:21], off
	v_lshl_add_u64 v[20:21], v[16:17], 0, 1
	s_waitcnt vmcnt(0)
	v_cmp_lt_i32_e32 vcc, v19, v18
	s_nop 1
	v_cndmask_b32_e32 v13, v13, v21, vcc
	v_cndmask_b32_e32 v12, v12, v20, vcc
	;; [unrolled: 1-line block ×4, first 2 shown]
	s_or_b64 exec, exec, s[0:1]
	v_cmp_lt_i64_e32 vcc, v[12:13], v[14:15]
	s_and_saveexec_b64 s[0:1], vcc
	s_cbranch_execz .LBB20_61
.LBB20_65:
	v_mad_u64_u32 v[16:17], s[4:5], v14, 15, v[12:13]
	v_mov_b32_e32 v20, v17
	v_mad_u64_u32 v[20:21], s[4:5], v15, 15, v[20:21]
	v_mov_b32_e32 v17, v20
	v_lshrrev_b64 v[16:17], 4, v[16:17]
	v_lshl_add_u64 v[20:21], v[16:17], 2, s[12:13]
	global_load_dword v19, v[20:21], off
	v_lshl_add_u64 v[20:21], v[16:17], 0, 1
	s_waitcnt vmcnt(0)
	v_cmp_lt_i32_e32 vcc, v19, v18
	s_nop 1
	v_cndmask_b32_e32 v13, v13, v21, vcc
	v_cndmask_b32_e32 v12, v12, v20, vcc
	;; [unrolled: 1-line block ×4, first 2 shown]
	s_or_b64 exec, exec, s[0:1]
	v_cmp_lt_i64_e32 vcc, v[12:13], v[14:15]
	s_and_saveexec_b64 s[0:1], vcc
	s_cbranch_execz .LBB20_69
.LBB20_66:
	s_mov_b64 s[4:5], 0
.LBB20_67:                              ; =>This Inner Loop Header: Depth=1
	v_lshl_add_u64 v[16:17], v[12:13], 0, v[14:15]
	v_lshrrev_b64 v[16:17], 1, v[16:17]
	v_lshl_add_u64 v[20:21], v[16:17], 2, s[12:13]
	global_load_dword v19, v[20:21], off
	v_lshl_add_u64 v[20:21], v[16:17], 0, 1
	s_waitcnt vmcnt(0)
	v_cmp_lt_i32_e32 vcc, v19, v18
	s_nop 1
	v_cndmask_b32_e32 v13, v13, v21, vcc
	v_cndmask_b32_e32 v12, v12, v20, vcc
	v_cndmask_b32_e32 v15, v17, v15, vcc
	v_cndmask_b32_e32 v14, v16, v14, vcc
	v_cmp_ge_i64_e32 vcc, v[12:13], v[14:15]
	s_or_b64 s[4:5], vcc, s[4:5]
	s_andn2_b64 exec, exec, s[4:5]
	s_cbranch_execnz .LBB20_67
; %bb.68:
	s_or_b64 exec, exec, s[4:5]
.LBB20_69:
	s_or_b64 exec, exec, s[0:1]
	v_sub_co_u32_e32 v0, vcc, v0, v6
	v_mov_b32_e32 v19, s7
	s_nop 0
	v_subb_co_u32_e32 v1, vcc, v1, v7, vcc
	v_sub_co_u32_e32 v16, vcc, v10, v12
	s_nop 1
	v_subb_co_u32_e32 v17, vcc, v11, v13, vcc
	v_lshl_add_u64 v[14:15], v[16:17], 0, v[0:1]
	v_ashrrev_i64 v[0:1], 1, v[14:15]
	v_cmp_gt_i64_e32 vcc, v[0:1], v[16:17]
	s_nop 1
	v_cndmask_b32_e32 v1, v17, v1, vcc
	v_cndmask_b32_e32 v0, v16, v0, vcc
	v_lshl_add_u64 v[12:13], v[12:13], 0, v[0:1]
	v_lshl_add_u64 v[12:13], v[12:13], 0, 1
	v_cmp_gt_i64_e32 vcc, s[6:7], v[12:13]
	s_nop 1
	v_cndmask_b32_e32 v13, v19, v13, vcc
	v_mov_b32_e32 v19, s6
	v_cndmask_b32_e32 v12, v19, v12, vcc
	v_sub_co_u32_e32 v12, vcc, v12, v10
	s_nop 1
	v_subb_co_u32_e32 v13, vcc, v13, v11, vcc
	v_mov_b64_e32 v[10:11], 0
	v_cmp_lt_i64_e32 vcc, 0, v[12:13]
	s_and_saveexec_b64 s[0:1], vcc
	s_cbranch_execz .LBB20_73
; %bb.70:
	s_mov_b64 s[4:5], 0
	v_mov_b64_e32 v[10:11], 0
.LBB20_71:                              ; =>This Inner Loop Header: Depth=1
	v_lshl_add_u64 v[20:21], v[10:11], 0, v[12:13]
	v_lshrrev_b64 v[20:21], 1, v[20:21]
	v_lshl_add_u64 v[22:23], v[20:21], 2, v[8:9]
	global_load_dword v19, v[22:23], off
	v_lshl_add_u64 v[22:23], v[20:21], 0, 1
	s_waitcnt vmcnt(0)
	v_cmp_lt_i32_e32 vcc, v18, v19
	s_nop 1
	v_cndmask_b32_e32 v11, v23, v11, vcc
	v_cndmask_b32_e32 v10, v22, v10, vcc
	;; [unrolled: 1-line block ×4, first 2 shown]
	v_cmp_ge_i64_e32 vcc, v[10:11], v[12:13]
	s_or_b64 s[4:5], vcc, s[4:5]
	s_andn2_b64 exec, exec, s[4:5]
	s_cbranch_execnz .LBB20_71
; %bb.72:
	s_or_b64 exec, exec, s[4:5]
	v_ashrrev_i32_e32 v11, 31, v10
.LBB20_73:
	s_or_b64 exec, exec, s[0:1]
	v_lshl_add_u64 v[8:9], v[10:11], 0, v[16:17]
	v_cmp_lt_i64_e32 vcc, v[8:9], v[0:1]
	v_cmp_lt_i64_e64 s[0:1], v[0:1], v[8:9]
	s_nop 0
	v_cndmask_b32_e32 v10, v0, v8, vcc
	v_cndmask_b32_e32 v11, v1, v9, vcc
	v_sub_co_u32_e32 v12, vcc, v14, v10
	s_nop 1
	v_subb_co_u32_e32 v13, vcc, v15, v11, vcc
	v_lshl_add_u64 v[10:11], v[10:11], 0, 1
	v_cmp_eq_u64_e32 vcc, v[12:13], v[10:11]
	s_and_b64 s[0:1], vcc, s[0:1]
	v_cndmask_b32_e64 v8, 0, 1, s[0:1]
	s_mov_b32 s0, 0
	v_mov_b32_e32 v9, s0
	v_lshl_add_u64 v[0:1], v[12:13], 0, v[6:7]
.LBB20_74:
	s_or_b64 exec, exec, s[2:3]
	v_lshl_add_u64 v[6:7], v[2:3], 4, s[8:9]
	v_lshl_add_u64 v[2:3], v[8:9], 0, v[4:5]
	v_sub_co_u32_e32 v2, vcc, v2, v0
	s_nop 1
	v_subb_co_u32_e32 v3, vcc, v3, v1, vcc
	global_store_dwordx4 v[6:7], v[0:3], off
	s_endpgm
	.section	.rodata,"a",@progbits
	.p2align	6, 0x0
	.amdhsa_kernel _ZN6thrust23THRUST_200600_302600_NS11hip_rocprim14__parallel_for6kernelILj256EZNS1_16__set_operations9doit_stepILb0ENS0_6detail15normal_iteratorINS0_10device_ptrIKiEEEESB_PiSC_lNS7_INS8_IiEEEESC_NS0_4lessIiEENS4_16serial_set_unionEEE10hipError_tPvRmT0_T1_T2_T3_T4_SP_T5_T6_PSP_T7_T8_P12ihipStream_tbEUllE_jLj1EEEvSL_SM_SM_
		.amdhsa_group_segment_fixed_size 0
		.amdhsa_private_segment_fixed_size 0
		.amdhsa_kernarg_size 56
		.amdhsa_user_sgpr_count 2
		.amdhsa_user_sgpr_dispatch_ptr 0
		.amdhsa_user_sgpr_queue_ptr 0
		.amdhsa_user_sgpr_kernarg_segment_ptr 1
		.amdhsa_user_sgpr_dispatch_id 0
		.amdhsa_user_sgpr_kernarg_preload_length 0
		.amdhsa_user_sgpr_kernarg_preload_offset 0
		.amdhsa_user_sgpr_private_segment_size 0
		.amdhsa_uses_dynamic_stack 0
		.amdhsa_enable_private_segment 0
		.amdhsa_system_sgpr_workgroup_id_x 1
		.amdhsa_system_sgpr_workgroup_id_y 0
		.amdhsa_system_sgpr_workgroup_id_z 0
		.amdhsa_system_sgpr_workgroup_info 0
		.amdhsa_system_vgpr_workitem_id 0
		.amdhsa_next_free_vgpr 25
		.amdhsa_next_free_sgpr 20
		.amdhsa_accum_offset 28
		.amdhsa_reserve_vcc 1
		.amdhsa_float_round_mode_32 0
		.amdhsa_float_round_mode_16_64 0
		.amdhsa_float_denorm_mode_32 3
		.amdhsa_float_denorm_mode_16_64 3
		.amdhsa_dx10_clamp 1
		.amdhsa_ieee_mode 1
		.amdhsa_fp16_overflow 0
		.amdhsa_tg_split 0
		.amdhsa_exception_fp_ieee_invalid_op 0
		.amdhsa_exception_fp_denorm_src 0
		.amdhsa_exception_fp_ieee_div_zero 0
		.amdhsa_exception_fp_ieee_overflow 0
		.amdhsa_exception_fp_ieee_underflow 0
		.amdhsa_exception_fp_ieee_inexact 0
		.amdhsa_exception_int_div_zero 0
	.end_amdhsa_kernel
	.section	.text._ZN6thrust23THRUST_200600_302600_NS11hip_rocprim14__parallel_for6kernelILj256EZNS1_16__set_operations9doit_stepILb0ENS0_6detail15normal_iteratorINS0_10device_ptrIKiEEEESB_PiSC_lNS7_INS8_IiEEEESC_NS0_4lessIiEENS4_16serial_set_unionEEE10hipError_tPvRmT0_T1_T2_T3_T4_SP_T5_T6_PSP_T7_T8_P12ihipStream_tbEUllE_jLj1EEEvSL_SM_SM_,"axG",@progbits,_ZN6thrust23THRUST_200600_302600_NS11hip_rocprim14__parallel_for6kernelILj256EZNS1_16__set_operations9doit_stepILb0ENS0_6detail15normal_iteratorINS0_10device_ptrIKiEEEESB_PiSC_lNS7_INS8_IiEEEESC_NS0_4lessIiEENS4_16serial_set_unionEEE10hipError_tPvRmT0_T1_T2_T3_T4_SP_T5_T6_PSP_T7_T8_P12ihipStream_tbEUllE_jLj1EEEvSL_SM_SM_,comdat
.Lfunc_end20:
	.size	_ZN6thrust23THRUST_200600_302600_NS11hip_rocprim14__parallel_for6kernelILj256EZNS1_16__set_operations9doit_stepILb0ENS0_6detail15normal_iteratorINS0_10device_ptrIKiEEEESB_PiSC_lNS7_INS8_IiEEEESC_NS0_4lessIiEENS4_16serial_set_unionEEE10hipError_tPvRmT0_T1_T2_T3_T4_SP_T5_T6_PSP_T7_T8_P12ihipStream_tbEUllE_jLj1EEEvSL_SM_SM_, .Lfunc_end20-_ZN6thrust23THRUST_200600_302600_NS11hip_rocprim14__parallel_for6kernelILj256EZNS1_16__set_operations9doit_stepILb0ENS0_6detail15normal_iteratorINS0_10device_ptrIKiEEEESB_PiSC_lNS7_INS8_IiEEEESC_NS0_4lessIiEENS4_16serial_set_unionEEE10hipError_tPvRmT0_T1_T2_T3_T4_SP_T5_T6_PSP_T7_T8_P12ihipStream_tbEUllE_jLj1EEEvSL_SM_SM_
                                        ; -- End function
	.set _ZN6thrust23THRUST_200600_302600_NS11hip_rocprim14__parallel_for6kernelILj256EZNS1_16__set_operations9doit_stepILb0ENS0_6detail15normal_iteratorINS0_10device_ptrIKiEEEESB_PiSC_lNS7_INS8_IiEEEESC_NS0_4lessIiEENS4_16serial_set_unionEEE10hipError_tPvRmT0_T1_T2_T3_T4_SP_T5_T6_PSP_T7_T8_P12ihipStream_tbEUllE_jLj1EEEvSL_SM_SM_.num_vgpr, 25
	.set _ZN6thrust23THRUST_200600_302600_NS11hip_rocprim14__parallel_for6kernelILj256EZNS1_16__set_operations9doit_stepILb0ENS0_6detail15normal_iteratorINS0_10device_ptrIKiEEEESB_PiSC_lNS7_INS8_IiEEEESC_NS0_4lessIiEENS4_16serial_set_unionEEE10hipError_tPvRmT0_T1_T2_T3_T4_SP_T5_T6_PSP_T7_T8_P12ihipStream_tbEUllE_jLj1EEEvSL_SM_SM_.num_agpr, 0
	.set _ZN6thrust23THRUST_200600_302600_NS11hip_rocprim14__parallel_for6kernelILj256EZNS1_16__set_operations9doit_stepILb0ENS0_6detail15normal_iteratorINS0_10device_ptrIKiEEEESB_PiSC_lNS7_INS8_IiEEEESC_NS0_4lessIiEENS4_16serial_set_unionEEE10hipError_tPvRmT0_T1_T2_T3_T4_SP_T5_T6_PSP_T7_T8_P12ihipStream_tbEUllE_jLj1EEEvSL_SM_SM_.numbered_sgpr, 20
	.set _ZN6thrust23THRUST_200600_302600_NS11hip_rocprim14__parallel_for6kernelILj256EZNS1_16__set_operations9doit_stepILb0ENS0_6detail15normal_iteratorINS0_10device_ptrIKiEEEESB_PiSC_lNS7_INS8_IiEEEESC_NS0_4lessIiEENS4_16serial_set_unionEEE10hipError_tPvRmT0_T1_T2_T3_T4_SP_T5_T6_PSP_T7_T8_P12ihipStream_tbEUllE_jLj1EEEvSL_SM_SM_.num_named_barrier, 0
	.set _ZN6thrust23THRUST_200600_302600_NS11hip_rocprim14__parallel_for6kernelILj256EZNS1_16__set_operations9doit_stepILb0ENS0_6detail15normal_iteratorINS0_10device_ptrIKiEEEESB_PiSC_lNS7_INS8_IiEEEESC_NS0_4lessIiEENS4_16serial_set_unionEEE10hipError_tPvRmT0_T1_T2_T3_T4_SP_T5_T6_PSP_T7_T8_P12ihipStream_tbEUllE_jLj1EEEvSL_SM_SM_.private_seg_size, 0
	.set _ZN6thrust23THRUST_200600_302600_NS11hip_rocprim14__parallel_for6kernelILj256EZNS1_16__set_operations9doit_stepILb0ENS0_6detail15normal_iteratorINS0_10device_ptrIKiEEEESB_PiSC_lNS7_INS8_IiEEEESC_NS0_4lessIiEENS4_16serial_set_unionEEE10hipError_tPvRmT0_T1_T2_T3_T4_SP_T5_T6_PSP_T7_T8_P12ihipStream_tbEUllE_jLj1EEEvSL_SM_SM_.uses_vcc, 1
	.set _ZN6thrust23THRUST_200600_302600_NS11hip_rocprim14__parallel_for6kernelILj256EZNS1_16__set_operations9doit_stepILb0ENS0_6detail15normal_iteratorINS0_10device_ptrIKiEEEESB_PiSC_lNS7_INS8_IiEEEESC_NS0_4lessIiEENS4_16serial_set_unionEEE10hipError_tPvRmT0_T1_T2_T3_T4_SP_T5_T6_PSP_T7_T8_P12ihipStream_tbEUllE_jLj1EEEvSL_SM_SM_.uses_flat_scratch, 0
	.set _ZN6thrust23THRUST_200600_302600_NS11hip_rocprim14__parallel_for6kernelILj256EZNS1_16__set_operations9doit_stepILb0ENS0_6detail15normal_iteratorINS0_10device_ptrIKiEEEESB_PiSC_lNS7_INS8_IiEEEESC_NS0_4lessIiEENS4_16serial_set_unionEEE10hipError_tPvRmT0_T1_T2_T3_T4_SP_T5_T6_PSP_T7_T8_P12ihipStream_tbEUllE_jLj1EEEvSL_SM_SM_.has_dyn_sized_stack, 0
	.set _ZN6thrust23THRUST_200600_302600_NS11hip_rocprim14__parallel_for6kernelILj256EZNS1_16__set_operations9doit_stepILb0ENS0_6detail15normal_iteratorINS0_10device_ptrIKiEEEESB_PiSC_lNS7_INS8_IiEEEESC_NS0_4lessIiEENS4_16serial_set_unionEEE10hipError_tPvRmT0_T1_T2_T3_T4_SP_T5_T6_PSP_T7_T8_P12ihipStream_tbEUllE_jLj1EEEvSL_SM_SM_.has_recursion, 0
	.set _ZN6thrust23THRUST_200600_302600_NS11hip_rocprim14__parallel_for6kernelILj256EZNS1_16__set_operations9doit_stepILb0ENS0_6detail15normal_iteratorINS0_10device_ptrIKiEEEESB_PiSC_lNS7_INS8_IiEEEESC_NS0_4lessIiEENS4_16serial_set_unionEEE10hipError_tPvRmT0_T1_T2_T3_T4_SP_T5_T6_PSP_T7_T8_P12ihipStream_tbEUllE_jLj1EEEvSL_SM_SM_.has_indirect_call, 0
	.section	.AMDGPU.csdata,"",@progbits
; Kernel info:
; codeLenInByte = 3768
; TotalNumSgprs: 26
; NumVgprs: 25
; NumAgprs: 0
; TotalNumVgprs: 25
; ScratchSize: 0
; MemoryBound: 0
; FloatMode: 240
; IeeeMode: 1
; LDSByteSize: 0 bytes/workgroup (compile time only)
; SGPRBlocks: 3
; VGPRBlocks: 3
; NumSGPRsForWavesPerEU: 26
; NumVGPRsForWavesPerEU: 25
; AccumOffset: 28
; Occupancy: 8
; WaveLimiterHint : 0
; COMPUTE_PGM_RSRC2:SCRATCH_EN: 0
; COMPUTE_PGM_RSRC2:USER_SGPR: 2
; COMPUTE_PGM_RSRC2:TRAP_HANDLER: 0
; COMPUTE_PGM_RSRC2:TGID_X_EN: 1
; COMPUTE_PGM_RSRC2:TGID_Y_EN: 0
; COMPUTE_PGM_RSRC2:TGID_Z_EN: 0
; COMPUTE_PGM_RSRC2:TIDIG_COMP_CNT: 0
; COMPUTE_PGM_RSRC3_GFX90A:ACCUM_OFFSET: 6
; COMPUTE_PGM_RSRC3_GFX90A:TG_SPLIT: 0
	.section	.text._ZN6thrust23THRUST_200600_302600_NS11hip_rocprim16__set_operations22lookback_set_op_kernelIN7rocprim17ROCPRIM_400000_NS13kernel_configILj256ELj16ELj4294967295EEELb0ENS0_6detail15normal_iteratorINS0_10device_ptrIKiEEEESD_PiSE_lNS9_INSA_IiEEEESE_NS0_4lessIiEENS2_16serial_set_unionENS5_6detail19lookback_scan_stateIlLb0ELb1EEEEEvT1_T2_T3_T4_T6_T7_T8_T9_PNS0_4pairIT5_SW_EEPSW_T10_NSK_16ordered_block_idIjEE,"axG",@progbits,_ZN6thrust23THRUST_200600_302600_NS11hip_rocprim16__set_operations22lookback_set_op_kernelIN7rocprim17ROCPRIM_400000_NS13kernel_configILj256ELj16ELj4294967295EEELb0ENS0_6detail15normal_iteratorINS0_10device_ptrIKiEEEESD_PiSE_lNS9_INSA_IiEEEESE_NS0_4lessIiEENS2_16serial_set_unionENS5_6detail19lookback_scan_stateIlLb0ELb1EEEEEvT1_T2_T3_T4_T6_T7_T8_T9_PNS0_4pairIT5_SW_EEPSW_T10_NSK_16ordered_block_idIjEE,comdat
	.protected	_ZN6thrust23THRUST_200600_302600_NS11hip_rocprim16__set_operations22lookback_set_op_kernelIN7rocprim17ROCPRIM_400000_NS13kernel_configILj256ELj16ELj4294967295EEELb0ENS0_6detail15normal_iteratorINS0_10device_ptrIKiEEEESD_PiSE_lNS9_INSA_IiEEEESE_NS0_4lessIiEENS2_16serial_set_unionENS5_6detail19lookback_scan_stateIlLb0ELb1EEEEEvT1_T2_T3_T4_T6_T7_T8_T9_PNS0_4pairIT5_SW_EEPSW_T10_NSK_16ordered_block_idIjEE ; -- Begin function _ZN6thrust23THRUST_200600_302600_NS11hip_rocprim16__set_operations22lookback_set_op_kernelIN7rocprim17ROCPRIM_400000_NS13kernel_configILj256ELj16ELj4294967295EEELb0ENS0_6detail15normal_iteratorINS0_10device_ptrIKiEEEESD_PiSE_lNS9_INSA_IiEEEESE_NS0_4lessIiEENS2_16serial_set_unionENS5_6detail19lookback_scan_stateIlLb0ELb1EEEEEvT1_T2_T3_T4_T6_T7_T8_T9_PNS0_4pairIT5_SW_EEPSW_T10_NSK_16ordered_block_idIjEE
	.globl	_ZN6thrust23THRUST_200600_302600_NS11hip_rocprim16__set_operations22lookback_set_op_kernelIN7rocprim17ROCPRIM_400000_NS13kernel_configILj256ELj16ELj4294967295EEELb0ENS0_6detail15normal_iteratorINS0_10device_ptrIKiEEEESD_PiSE_lNS9_INSA_IiEEEESE_NS0_4lessIiEENS2_16serial_set_unionENS5_6detail19lookback_scan_stateIlLb0ELb1EEEEEvT1_T2_T3_T4_T6_T7_T8_T9_PNS0_4pairIT5_SW_EEPSW_T10_NSK_16ordered_block_idIjEE
	.p2align	8
	.type	_ZN6thrust23THRUST_200600_302600_NS11hip_rocprim16__set_operations22lookback_set_op_kernelIN7rocprim17ROCPRIM_400000_NS13kernel_configILj256ELj16ELj4294967295EEELb0ENS0_6detail15normal_iteratorINS0_10device_ptrIKiEEEESD_PiSE_lNS9_INSA_IiEEEESE_NS0_4lessIiEENS2_16serial_set_unionENS5_6detail19lookback_scan_stateIlLb0ELb1EEEEEvT1_T2_T3_T4_T6_T7_T8_T9_PNS0_4pairIT5_SW_EEPSW_T10_NSK_16ordered_block_idIjEE,@function
_ZN6thrust23THRUST_200600_302600_NS11hip_rocprim16__set_operations22lookback_set_op_kernelIN7rocprim17ROCPRIM_400000_NS13kernel_configILj256ELj16ELj4294967295EEELb0ENS0_6detail15normal_iteratorINS0_10device_ptrIKiEEEESD_PiSE_lNS9_INSA_IiEEEESE_NS0_4lessIiEENS2_16serial_set_unionENS5_6detail19lookback_scan_stateIlLb0ELb1EEEEEvT1_T2_T3_T4_T6_T7_T8_T9_PNS0_4pairIT5_SW_EEPSW_T10_NSK_16ordered_block_idIjEE: ; @_ZN6thrust23THRUST_200600_302600_NS11hip_rocprim16__set_operations22lookback_set_op_kernelIN7rocprim17ROCPRIM_400000_NS13kernel_configILj256ELj16ELj4294967295EEELb0ENS0_6detail15normal_iteratorINS0_10device_ptrIKiEEEESD_PiSE_lNS9_INSA_IiEEEESE_NS0_4lessIiEENS2_16serial_set_unionENS5_6detail19lookback_scan_stateIlLb0ELb1EEEEEvT1_T2_T3_T4_T6_T7_T8_T9_PNS0_4pairIT5_SW_EEPSW_T10_NSK_16ordered_block_idIjEE
; %bb.0:
	s_load_dword s2, s[0:1], 0x64
	s_load_dword s8, s[0:1], 0x58
	s_load_dwordx8 s[52:59], s[0:1], 0x38
	v_bfe_u32 v1, v0, 10, 10
	v_bfe_u32 v2, v0, 20, 10
	s_waitcnt lgkmcnt(0)
	s_lshr_b32 s3, s2, 16
	s_and_b32 s2, s2, 0xffff
	v_mad_u32_u24 v1, v2, s3, v1
	v_and_b32_e32 v16, 0x3ff, v0
	v_mul_lo_u32 v1, v1, s2
	v_sub_u32_e32 v0, 0, v16
	v_cmp_eq_u32_e32 vcc, v1, v0
	s_and_saveexec_b64 s[2:3], vcc
	s_cbranch_execz .LBB21_4
; %bb.1:
	s_mov_b64 s[6:7], exec
	v_mbcnt_lo_u32_b32 v0, s6, 0
	v_mbcnt_hi_u32_b32 v0, s7, v0
	v_cmp_eq_u32_e32 vcc, 0, v0
                                        ; implicit-def: $vgpr1
	s_and_saveexec_b64 s[4:5], vcc
	s_cbranch_execz .LBB21_3
; %bb.2:
	s_bcnt1_i32_b64 s6, s[6:7]
	v_mov_b32_e32 v1, 0
	v_mov_b32_e32 v2, s6
	global_atomic_add v1, v1, v2, s[58:59] sc0
.LBB21_3:
	s_or_b64 exec, exec, s[4:5]
	s_waitcnt vmcnt(0)
	v_readfirstlane_b32 s4, v1
	v_mov_b32_e32 v1, 0
	s_nop 0
	v_add_u32_e32 v0, s4, v0
	ds_write_b32 v1, v0 offset:36864
.LBB21_4:
	s_or_b64 exec, exec, s[2:3]
	v_mov_b32_e32 v0, 0
	s_waitcnt lgkmcnt(0)
	s_barrier
	ds_read_b32 v1, v0 offset:36864
	s_add_i32 s8, s8, -1
	s_waitcnt lgkmcnt(0)
	v_readfirstlane_b32 s58, v1
	s_ashr_i32 s59, s58, 31
	s_lshl_b64 s[2:3], s[58:59], 4
	s_add_u32 s2, s52, s2
	s_addc_u32 s3, s53, s3
	global_load_dwordx4 v[2:5], v0, s[2:3] offset:16
	global_load_dwordx4 v[6:9], v0, s[2:3]
	s_load_dwordx4 s[4:7], s[0:1], 0x0
	s_load_dwordx2 s[52:53], s[0:1], 0x20
	v_cmp_le_i32_e32 vcc, s8, v1
	s_and_b64 vcc, exec, vcc
	s_mov_b64 s[0:1], -1
	s_waitcnt vmcnt(0)
	v_sub_u32_e32 v26, v2, v6
	v_sub_u32_e32 v27, v4, v8
	v_lshlrev_b64 v[2:3], 2, v[6:7]
	v_lshlrev_b64 v[4:5], 2, v[8:9]
	s_waitcnt lgkmcnt(0)
	v_lshl_add_u64 v[20:21], s[4:5], 0, v[2:3]
	v_lshl_add_u64 v[18:19], s[6:7], 0, v[4:5]
	s_cbranch_vccz .LBB21_212
; %bb.5:
	v_add_u32_e32 v17, v27, v26
	v_cmp_lt_i32_e32 vcc, v16, v17
	v_mov_b32_e32 v1, v0
	v_mov_b32_e32 v2, v0
	v_mov_b32_e32 v3, v0
	v_mov_b32_e32 v4, v0
	v_mov_b32_e32 v5, v0
	v_mov_b32_e32 v6, v0
	v_mov_b32_e32 v7, v0
	v_mov_b32_e32 v8, v0
	v_mov_b32_e32 v9, v0
	v_mov_b32_e32 v10, v0
	v_mov_b32_e32 v11, v0
	v_mov_b32_e32 v12, v0
	v_mov_b32_e32 v13, v0
	v_mov_b32_e32 v14, v0
	v_mov_b32_e32 v15, v0
	s_and_saveexec_b64 s[0:1], vcc
	s_cbranch_execz .LBB21_7
; %bb.6:
	v_lshlrev_b32_e32 v0, 2, v16
	v_mov_b32_e32 v1, 0
	v_lshl_add_u64 v[2:3], v[20:21], 0, v[0:1]
	v_sub_u32_e32 v0, v16, v26
	v_lshl_add_u64 v[4:5], v[0:1], 2, v[18:19]
	v_cmp_lt_i32_e32 vcc, v16, v26
	v_mov_b32_e32 v6, v1
	v_mov_b32_e32 v7, v1
	v_cndmask_b32_e32 v3, v5, v3, vcc
	v_cndmask_b32_e32 v2, v4, v2, vcc
	global_load_dword v0, v[2:3], off
	v_mov_b32_e32 v2, v1
	v_mov_b32_e32 v3, v1
	;; [unrolled: 1-line block ×12, first 2 shown]
.LBB21_7:
	s_or_b64 exec, exec, s[0:1]
	v_add_u32_e32 v22, 0x100, v16
	v_cmp_lt_i32_e32 vcc, v22, v17
	s_and_saveexec_b64 s[0:1], vcc
	s_cbranch_execz .LBB21_9
; %bb.8:
	v_lshlrev_b32_e32 v24, 2, v16
	v_mov_b32_e32 v25, 0
	v_lshl_add_u64 v[28:29], v[20:21], 0, v[24:25]
	s_mov_b64 s[2:3], 0x400
	v_sub_u32_e32 v24, v22, v26
	v_lshl_add_u64 v[28:29], v[28:29], 0, s[2:3]
	v_lshl_add_u64 v[24:25], v[24:25], 2, v[18:19]
	v_cmp_lt_i32_e32 vcc, v22, v26
	s_nop 1
	v_cndmask_b32_e32 v23, v25, v29, vcc
	v_cndmask_b32_e32 v22, v24, v28, vcc
	global_load_dword v1, v[22:23], off
.LBB21_9:
	s_or_b64 exec, exec, s[0:1]
	v_add_u32_e32 v22, 0x200, v16
	v_cmp_lt_i32_e32 vcc, v22, v17
	s_and_saveexec_b64 s[0:1], vcc
	s_cbranch_execz .LBB21_11
; %bb.10:
	v_lshlrev_b32_e32 v24, 2, v16
	v_mov_b32_e32 v25, 0
	v_lshl_add_u64 v[28:29], v[20:21], 0, v[24:25]
	s_mov_b64 s[2:3], 0x800
	v_sub_u32_e32 v24, v22, v26
	v_lshl_add_u64 v[28:29], v[28:29], 0, s[2:3]
	v_lshl_add_u64 v[24:25], v[24:25], 2, v[18:19]
	v_cmp_lt_i32_e32 vcc, v22, v26
	s_nop 1
	v_cndmask_b32_e32 v23, v25, v29, vcc
	v_cndmask_b32_e32 v22, v24, v28, vcc
	global_load_dword v2, v[22:23], off
.LBB21_11:
	;; [unrolled: 19-line block ×3, first 2 shown]
	s_or_b64 exec, exec, s[0:1]
	v_or_b32_e32 v22, 0x400, v16
	v_cmp_lt_i32_e32 vcc, v22, v17
	s_and_saveexec_b64 s[0:1], vcc
	s_cbranch_execz .LBB21_15
; %bb.14:
	v_lshlrev_b32_e32 v24, 2, v22
	v_mov_b32_e32 v25, 0
	v_lshl_add_u64 v[28:29], v[20:21], 0, v[24:25]
	v_sub_u32_e32 v24, v22, v26
	v_lshl_add_u64 v[24:25], v[24:25], 2, v[18:19]
	v_cmp_lt_i32_e32 vcc, v22, v26
	s_nop 1
	v_cndmask_b32_e32 v23, v25, v29, vcc
	v_cndmask_b32_e32 v22, v24, v28, vcc
	global_load_dword v4, v[22:23], off
.LBB21_15:
	s_or_b64 exec, exec, s[0:1]
	v_add_u32_e32 v22, 0x500, v16
	v_cmp_lt_i32_e32 vcc, v22, v17
	s_and_saveexec_b64 s[0:1], vcc
	s_cbranch_execz .LBB21_17
; %bb.16:
	v_lshlrev_b32_e32 v24, 2, v22
	v_mov_b32_e32 v25, 0
	v_lshl_add_u64 v[28:29], v[20:21], 0, v[24:25]
	v_sub_u32_e32 v24, v22, v26
	v_lshl_add_u64 v[24:25], v[24:25], 2, v[18:19]
	v_cmp_lt_i32_e32 vcc, v22, v26
	s_nop 1
	v_cndmask_b32_e32 v23, v25, v29, vcc
	v_cndmask_b32_e32 v22, v24, v28, vcc
	global_load_dword v5, v[22:23], off
.LBB21_17:
	s_or_b64 exec, exec, s[0:1]
	v_add_u32_e32 v22, 0x600, v16
	;; [unrolled: 17-line block ×3, first 2 shown]
	v_cmp_lt_i32_e32 vcc, v22, v17
	s_and_saveexec_b64 s[0:1], vcc
	s_cbranch_execz .LBB21_21
; %bb.20:
	v_lshlrev_b32_e32 v24, 2, v22
	v_mov_b32_e32 v25, 0
	v_lshl_add_u64 v[28:29], v[20:21], 0, v[24:25]
	v_sub_u32_e32 v24, v22, v26
	v_lshl_add_u64 v[24:25], v[24:25], 2, v[18:19]
	v_cmp_lt_i32_e32 vcc, v22, v26
	s_nop 1
	v_cndmask_b32_e32 v23, v25, v29, vcc
	v_cndmask_b32_e32 v22, v24, v28, vcc
	global_load_dword v7, v[22:23], off
.LBB21_21:
	s_or_b64 exec, exec, s[0:1]
	v_or_b32_e32 v22, 0x800, v16
	v_cmp_lt_i32_e32 vcc, v22, v17
	s_and_saveexec_b64 s[0:1], vcc
	s_cbranch_execz .LBB21_23
; %bb.22:
	v_lshlrev_b32_e32 v24, 2, v22
	v_mov_b32_e32 v25, 0
	v_lshl_add_u64 v[28:29], v[20:21], 0, v[24:25]
	v_sub_u32_e32 v24, v22, v26
	v_lshl_add_u64 v[24:25], v[24:25], 2, v[18:19]
	v_cmp_lt_i32_e32 vcc, v22, v26
	s_nop 1
	v_cndmask_b32_e32 v23, v25, v29, vcc
	v_cndmask_b32_e32 v22, v24, v28, vcc
	global_load_dword v8, v[22:23], off
.LBB21_23:
	s_or_b64 exec, exec, s[0:1]
	v_add_u32_e32 v22, 0x900, v16
	v_cmp_lt_i32_e32 vcc, v22, v17
	s_and_saveexec_b64 s[0:1], vcc
	s_cbranch_execz .LBB21_25
; %bb.24:
	v_lshlrev_b32_e32 v24, 2, v22
	v_mov_b32_e32 v25, 0
	v_lshl_add_u64 v[28:29], v[20:21], 0, v[24:25]
	v_sub_u32_e32 v24, v22, v26
	v_lshl_add_u64 v[24:25], v[24:25], 2, v[18:19]
	v_cmp_lt_i32_e32 vcc, v22, v26
	s_nop 1
	v_cndmask_b32_e32 v23, v25, v29, vcc
	v_cndmask_b32_e32 v22, v24, v28, vcc
	global_load_dword v9, v[22:23], off
.LBB21_25:
	s_or_b64 exec, exec, s[0:1]
	v_add_u32_e32 v22, 0xa00, v16
	;; [unrolled: 17-line block ×3, first 2 shown]
	v_cmp_lt_i32_e32 vcc, v22, v17
	s_and_saveexec_b64 s[0:1], vcc
	s_cbranch_execz .LBB21_29
; %bb.28:
	v_lshlrev_b32_e32 v24, 2, v22
	v_mov_b32_e32 v25, 0
	v_lshl_add_u64 v[28:29], v[20:21], 0, v[24:25]
	v_sub_u32_e32 v24, v22, v26
	v_lshl_add_u64 v[24:25], v[24:25], 2, v[18:19]
	v_cmp_lt_i32_e32 vcc, v22, v26
	s_nop 1
	v_cndmask_b32_e32 v23, v25, v29, vcc
	v_cndmask_b32_e32 v22, v24, v28, vcc
	global_load_dword v11, v[22:23], off
.LBB21_29:
	s_or_b64 exec, exec, s[0:1]
	v_or_b32_e32 v22, 0xc00, v16
	v_cmp_lt_i32_e32 vcc, v22, v17
	s_and_saveexec_b64 s[0:1], vcc
	s_cbranch_execz .LBB21_31
; %bb.30:
	v_lshlrev_b32_e32 v24, 2, v22
	v_mov_b32_e32 v25, 0
	v_lshl_add_u64 v[28:29], v[20:21], 0, v[24:25]
	v_sub_u32_e32 v24, v22, v26
	v_lshl_add_u64 v[24:25], v[24:25], 2, v[18:19]
	v_cmp_lt_i32_e32 vcc, v22, v26
	s_nop 1
	v_cndmask_b32_e32 v23, v25, v29, vcc
	v_cndmask_b32_e32 v22, v24, v28, vcc
	global_load_dword v12, v[22:23], off
.LBB21_31:
	s_or_b64 exec, exec, s[0:1]
	v_add_u32_e32 v22, 0xd00, v16
	v_cmp_lt_i32_e32 vcc, v22, v17
	s_and_saveexec_b64 s[0:1], vcc
	s_cbranch_execz .LBB21_33
; %bb.32:
	v_lshlrev_b32_e32 v24, 2, v22
	v_mov_b32_e32 v25, 0
	v_lshl_add_u64 v[28:29], v[20:21], 0, v[24:25]
	v_sub_u32_e32 v24, v22, v26
	v_lshl_add_u64 v[24:25], v[24:25], 2, v[18:19]
	v_cmp_lt_i32_e32 vcc, v22, v26
	s_nop 1
	v_cndmask_b32_e32 v23, v25, v29, vcc
	v_cndmask_b32_e32 v22, v24, v28, vcc
	global_load_dword v13, v[22:23], off
.LBB21_33:
	s_or_b64 exec, exec, s[0:1]
	v_add_u32_e32 v22, 0xe00, v16
	;; [unrolled: 17-line block ×3, first 2 shown]
	v_cmp_lt_i32_e32 vcc, v22, v17
	s_and_saveexec_b64 s[0:1], vcc
	s_cbranch_execz .LBB21_37
; %bb.36:
	v_lshlrev_b32_e32 v24, 2, v22
	v_mov_b32_e32 v25, 0
	v_lshl_add_u64 v[28:29], v[20:21], 0, v[24:25]
	v_sub_u32_e32 v24, v22, v26
	v_lshl_add_u64 v[24:25], v[24:25], 2, v[18:19]
	v_cmp_lt_i32_e32 vcc, v22, v26
	s_nop 1
	v_cndmask_b32_e32 v23, v25, v29, vcc
	v_cndmask_b32_e32 v22, v24, v28, vcc
	global_load_dword v15, v[22:23], off
.LBB21_37:
	s_or_b64 exec, exec, s[0:1]
	v_lshlrev_b32_e32 v22, 2, v16
	s_waitcnt vmcnt(0)
	ds_write2st64_b32 v22, v2, v3 offset0:84 offset1:88
	ds_write2st64_b32 v22, v4, v5 offset0:92 offset1:96
	;; [unrolled: 1-line block ×8, first 2 shown]
	v_lshlrev_b32_e32 v0, 4, v16
	v_min_i32_e32 v1, v17, v0
	v_lshlrev_b32_e32 v0, 2, v26
	v_add_u32_e32 v2, 0x4800, v0
	v_sub_u32_e32 v0, v1, v27
	v_max_i32_e32 v0, 0, v0
	v_min_i32_e32 v3, v26, v1
	v_cmp_lt_i32_e32 vcc, v0, v3
	s_waitcnt lgkmcnt(0)
	s_barrier
	s_and_saveexec_b64 s[0:1], vcc
	s_cbranch_execz .LBB21_41
; %bb.38:
	v_lshl_add_u32 v4, v1, 2, v2
	v_add_u32_e32 v4, 0x400, v4
	s_mov_b64 s[2:3], 0
.LBB21_39:                              ; =>This Inner Loop Header: Depth=1
	v_add_u32_e32 v5, v3, v0
	v_lshrrev_b32_e32 v5, 1, v5
	v_not_b32_e32 v7, v5
	v_lshlrev_b32_e32 v6, 2, v5
	v_lshl_add_u32 v7, v7, 2, v4
	ds_read_b32 v6, v6 offset:19456
	ds_read_b32 v7, v7
	v_add_u32_e32 v8, 1, v5
	s_waitcnt lgkmcnt(0)
	v_cmp_lt_i32_e32 vcc, v7, v6
	s_nop 1
	v_cndmask_b32_e32 v3, v3, v5, vcc
	v_cndmask_b32_e32 v0, v8, v0, vcc
	v_cmp_ge_i32_e32 vcc, v0, v3
	s_or_b64 s[2:3], vcc, s[2:3]
	s_andn2_b64 exec, exec, s[2:3]
	s_cbranch_execnz .LBB21_39
; %bb.40:
	s_or_b64 exec, exec, s[2:3]
.LBB21_41:
	s_or_b64 exec, exec, s[0:1]
	v_sub_u32_e32 v7, v1, v0
	v_add_u32_e32 v3, 0x4800, v22
	v_cmp_lt_i32_e32 vcc, v7, v27
	v_mov_b32_e32 v5, 0
	s_and_saveexec_b64 s[2:3], vcc
	s_cbranch_execz .LBB21_71
; %bb.42:
	v_lshl_add_u32 v5, v7, 2, v2
	ds_read_b32 v6, v5 offset:1024
	v_mov_b32_e32 v4, 0
	v_cmp_lt_i32_e32 vcc, 0, v0
	v_mov_b32_e32 v8, 0
	s_and_saveexec_b64 s[0:1], vcc
	s_cbranch_execnz .LBB21_47
; %bb.43:
	s_or_b64 exec, exec, s[0:1]
	v_cmp_lt_i32_e32 vcc, v4, v8
	s_and_saveexec_b64 s[0:1], vcc
	s_cbranch_execnz .LBB21_48
.LBB21_44:
	s_or_b64 exec, exec, s[0:1]
	v_cmp_lt_i32_e32 vcc, v4, v8
	s_and_saveexec_b64 s[0:1], vcc
	s_cbranch_execnz .LBB21_49
.LBB21_45:
	s_or_b64 exec, exec, s[0:1]
	v_cmp_lt_i32_e32 vcc, v4, v8
	s_and_saveexec_b64 s[0:1], vcc
	s_cbranch_execnz .LBB21_50
.LBB21_46:
	s_or_b64 exec, exec, s[0:1]
	v_cmp_lt_i32_e32 vcc, v4, v8
	s_and_saveexec_b64 s[0:1], vcc
	s_cbranch_execnz .LBB21_51
	s_branch .LBB21_54
.LBB21_47:
	s_movk_i32 s4, 0x1ff
	v_mul_lo_u32 v4, v0, s4
	v_ashrrev_i32_e32 v8, 9, v4
	v_lshlrev_b32_e32 v4, 2, v8
	ds_read_b32 v4, v4 offset:19456
	v_add_u32_e32 v9, 1, v8
	s_waitcnt lgkmcnt(0)
	v_cmp_lt_i32_e32 vcc, v4, v6
	s_nop 1
	v_cndmask_b32_e32 v4, 0, v9, vcc
	v_cndmask_b32_e32 v8, v8, v0, vcc
	s_or_b64 exec, exec, s[0:1]
	v_cmp_lt_i32_e32 vcc, v4, v8
	s_and_saveexec_b64 s[0:1], vcc
	s_cbranch_execz .LBB21_44
.LBB21_48:
	v_sub_u32_e32 v9, v4, v8
	v_lshl_add_u32 v9, v8, 7, v9
	v_ashrrev_i32_e32 v9, 7, v9
	v_lshlrev_b32_e32 v10, 2, v9
	ds_read_b32 v10, v10 offset:19456
	v_add_u32_e32 v11, 1, v9
	s_waitcnt lgkmcnt(0)
	v_cmp_lt_i32_e32 vcc, v10, v6
	s_nop 1
	v_cndmask_b32_e32 v4, v4, v11, vcc
	v_cndmask_b32_e32 v8, v9, v8, vcc
	s_or_b64 exec, exec, s[0:1]
	v_cmp_lt_i32_e32 vcc, v4, v8
	s_and_saveexec_b64 s[0:1], vcc
	s_cbranch_execz .LBB21_45
.LBB21_49:
	v_sub_u32_e32 v9, v4, v8
	v_lshl_add_u32 v9, v8, 5, v9
	v_ashrrev_i32_e32 v9, 5, v9
	v_lshlrev_b32_e32 v10, 2, v9
	ds_read_b32 v10, v10 offset:19456
	v_add_u32_e32 v11, 1, v9
	s_waitcnt lgkmcnt(0)
	v_cmp_lt_i32_e32 vcc, v10, v6
	s_nop 1
	v_cndmask_b32_e32 v4, v4, v11, vcc
	v_cndmask_b32_e32 v8, v9, v8, vcc
	s_or_b64 exec, exec, s[0:1]
	v_cmp_lt_i32_e32 vcc, v4, v8
	s_and_saveexec_b64 s[0:1], vcc
	s_cbranch_execz .LBB21_46
.LBB21_50:
	v_sub_u32_e32 v9, v4, v8
	v_lshl_add_u32 v9, v8, 4, v9
	v_ashrrev_i32_e32 v9, 4, v9
	v_lshlrev_b32_e32 v10, 2, v9
	ds_read_b32 v10, v10 offset:19456
	v_add_u32_e32 v11, 1, v9
	s_waitcnt lgkmcnt(0)
	v_cmp_lt_i32_e32 vcc, v10, v6
	s_nop 1
	v_cndmask_b32_e32 v4, v4, v11, vcc
	v_cndmask_b32_e32 v8, v9, v8, vcc
	s_or_b64 exec, exec, s[0:1]
	v_cmp_lt_i32_e32 vcc, v4, v8
	s_and_saveexec_b64 s[0:1], vcc
	s_cbranch_execz .LBB21_54
.LBB21_51:
	s_mov_b64 s[4:5], 0
.LBB21_52:                              ; =>This Inner Loop Header: Depth=1
	v_sub_u32_e32 v9, v4, v8
	v_lshl_add_u32 v9, v8, 1, v9
	v_ashrrev_i32_e32 v9, 1, v9
	v_lshlrev_b32_e32 v10, 2, v9
	ds_read_b32 v10, v10 offset:19456
	v_add_u32_e32 v11, 1, v9
	s_waitcnt lgkmcnt(0)
	v_cmp_lt_i32_e32 vcc, v10, v6
	s_nop 1
	v_cndmask_b32_e32 v4, v4, v11, vcc
	v_cndmask_b32_e32 v8, v9, v8, vcc
	v_cmp_ge_i32_e32 vcc, v4, v8
	s_or_b64 s[4:5], vcc, s[4:5]
	s_andn2_b64 exec, exec, s[4:5]
	s_cbranch_execnz .LBB21_52
; %bb.53:
	s_or_b64 exec, exec, s[4:5]
.LBB21_54:
	s_or_b64 exec, exec, s[0:1]
	v_mov_b32_e32 v8, 0
	v_cmp_lt_i32_e32 vcc, 0, v7
	v_mov_b32_e32 v9, v7
	s_and_saveexec_b64 s[0:1], vcc
	s_cbranch_execnz .LBB21_59
; %bb.55:
	s_or_b64 exec, exec, s[0:1]
	v_cmp_lt_i32_e32 vcc, v8, v9
	s_and_saveexec_b64 s[0:1], vcc
	s_cbranch_execnz .LBB21_60
.LBB21_56:
	s_or_b64 exec, exec, s[0:1]
	v_cmp_lt_i32_e32 vcc, v8, v9
	s_and_saveexec_b64 s[0:1], vcc
	s_cbranch_execnz .LBB21_61
.LBB21_57:
	s_or_b64 exec, exec, s[0:1]
	v_cmp_lt_i32_e32 vcc, v8, v9
	s_and_saveexec_b64 s[0:1], vcc
	s_cbranch_execnz .LBB21_62
.LBB21_58:
	s_or_b64 exec, exec, s[0:1]
	v_cmp_lt_i32_e32 vcc, v8, v9
	s_and_saveexec_b64 s[0:1], vcc
	s_cbranch_execnz .LBB21_63
	s_branch .LBB21_66
.LBB21_59:
	s_movk_i32 s4, 0x1ff
	v_mul_lo_u32 v8, v7, s4
	v_lshrrev_b32_e32 v9, 9, v8
	v_lshl_add_u32 v8, v9, 2, v2
	ds_read_b32 v8, v8 offset:1024
	v_add_u32_e32 v10, 1, v9
	s_waitcnt lgkmcnt(0)
	v_cmp_lt_i32_e32 vcc, v8, v6
	s_nop 1
	v_cndmask_b32_e32 v8, 0, v10, vcc
	v_cndmask_b32_e32 v9, v9, v7, vcc
	s_or_b64 exec, exec, s[0:1]
	v_cmp_lt_i32_e32 vcc, v8, v9
	s_and_saveexec_b64 s[0:1], vcc
	s_cbranch_execz .LBB21_56
.LBB21_60:
	v_sub_u32_e32 v10, v8, v9
	v_lshl_add_u32 v10, v9, 7, v10
	v_ashrrev_i32_e32 v10, 7, v10
	v_lshl_add_u32 v11, v10, 2, v2
	ds_read_b32 v11, v11 offset:1024
	v_add_u32_e32 v12, 1, v10
	s_waitcnt lgkmcnt(0)
	v_cmp_lt_i32_e32 vcc, v11, v6
	s_nop 1
	v_cndmask_b32_e32 v8, v8, v12, vcc
	v_cndmask_b32_e32 v9, v10, v9, vcc
	s_or_b64 exec, exec, s[0:1]
	v_cmp_lt_i32_e32 vcc, v8, v9
	s_and_saveexec_b64 s[0:1], vcc
	s_cbranch_execz .LBB21_57
.LBB21_61:
	v_sub_u32_e32 v10, v8, v9
	v_lshl_add_u32 v10, v9, 5, v10
	v_ashrrev_i32_e32 v10, 5, v10
	v_lshl_add_u32 v11, v10, 2, v2
	ds_read_b32 v11, v11 offset:1024
	v_add_u32_e32 v12, 1, v10
	s_waitcnt lgkmcnt(0)
	v_cmp_lt_i32_e32 vcc, v11, v6
	s_nop 1
	v_cndmask_b32_e32 v8, v8, v12, vcc
	v_cndmask_b32_e32 v9, v10, v9, vcc
	s_or_b64 exec, exec, s[0:1]
	v_cmp_lt_i32_e32 vcc, v8, v9
	s_and_saveexec_b64 s[0:1], vcc
	s_cbranch_execz .LBB21_58
.LBB21_62:
	v_sub_u32_e32 v10, v8, v9
	v_lshl_add_u32 v10, v9, 4, v10
	v_ashrrev_i32_e32 v10, 4, v10
	v_lshl_add_u32 v11, v10, 2, v2
	ds_read_b32 v11, v11 offset:1024
	v_add_u32_e32 v12, 1, v10
	s_waitcnt lgkmcnt(0)
	v_cmp_lt_i32_e32 vcc, v11, v6
	s_nop 1
	v_cndmask_b32_e32 v8, v8, v12, vcc
	v_cndmask_b32_e32 v9, v10, v9, vcc
	s_or_b64 exec, exec, s[0:1]
	v_cmp_lt_i32_e32 vcc, v8, v9
	s_and_saveexec_b64 s[0:1], vcc
	s_cbranch_execz .LBB21_66
.LBB21_63:
	s_mov_b64 s[4:5], 0
.LBB21_64:                              ; =>This Inner Loop Header: Depth=1
	v_sub_u32_e32 v10, v8, v9
	v_lshl_add_u32 v10, v9, 1, v10
	v_ashrrev_i32_e32 v10, 1, v10
	v_lshl_add_u32 v11, v10, 2, v2
	ds_read_b32 v11, v11 offset:1024
	v_add_u32_e32 v12, 1, v10
	s_waitcnt lgkmcnt(0)
	v_cmp_lt_i32_e32 vcc, v11, v6
	s_nop 1
	v_cndmask_b32_e32 v8, v8, v12, vcc
	v_cndmask_b32_e32 v9, v10, v9, vcc
	v_cmp_ge_i32_e32 vcc, v8, v9
	s_or_b64 s[4:5], vcc, s[4:5]
	s_andn2_b64 exec, exec, s[4:5]
	s_cbranch_execnz .LBB21_64
; %bb.65:
	s_or_b64 exec, exec, s[4:5]
.LBB21_66:
	s_or_b64 exec, exec, s[0:1]
	v_sub_u32_e32 v0, v0, v4
	v_sub_u32_e32 v9, v7, v8
	v_add_u32_e32 v2, v9, v0
	v_ashrrev_i32_e32 v0, 1, v2
	v_max_i32_e32 v0, v0, v9
	v_add3_u32 v8, v8, v0, 1
	v_min_i32_e32 v8, v8, v27
	v_sub_u32_e32 v8, v8, v7
	v_mov_b32_e32 v7, 0
	v_cmp_lt_i32_e32 vcc, 0, v8
	s_and_saveexec_b64 s[0:1], vcc
	s_cbranch_execz .LBB21_70
; %bb.67:
	v_mov_b32_e32 v7, 0
	s_mov_b64 s[4:5], 0
.LBB21_68:                              ; =>This Inner Loop Header: Depth=1
	v_add_u32_e32 v10, v7, v8
	v_lshrrev_b32_e32 v10, 1, v10
	v_lshl_add_u32 v11, v10, 2, v5
	ds_read_b32 v11, v11 offset:1024
	v_add_u32_e32 v12, 1, v10
	s_waitcnt lgkmcnt(0)
	v_cmp_lt_i32_e32 vcc, v6, v11
	s_nop 1
	v_cndmask_b32_e32 v7, v12, v7, vcc
	v_cndmask_b32_e32 v8, v8, v10, vcc
	v_cmp_ge_i32_e32 vcc, v7, v8
	s_or_b64 s[4:5], vcc, s[4:5]
	s_andn2_b64 exec, exec, s[4:5]
	s_cbranch_execnz .LBB21_68
; %bb.69:
	s_or_b64 exec, exec, s[4:5]
.LBB21_70:
	s_or_b64 exec, exec, s[0:1]
	v_add_u32_e32 v5, v7, v9
	s_waitcnt lgkmcnt(0)
	v_min_i32_e32 v6, v5, v0
	v_sub_u32_e32 v2, v2, v6
	v_add_u32_e32 v6, 1, v6
	v_cmp_eq_u32_e32 vcc, v2, v6
	v_cmp_lt_i32_e64 s[0:1], v0, v5
	s_and_b64 s[0:1], s[0:1], vcc
	v_add_u32_e32 v0, v2, v4
	v_cndmask_b32_e64 v5, 0, 1, s[0:1]
.LBB21_71:
	s_or_b64 exec, exec, s[2:3]
	v_add_u32_e32 v1, v5, v1
	v_sub_u32_e32 v6, v1, v0
	v_lshlrev_b32_e32 v2, 16, v26
	v_or_b32_e32 v2, v2, v27
	v_lshl_or_b32 v4, v0, 16, v6
	v_subrev_co_u32_e64 v5, s[0:1], 1, v16
	s_nop 1
	v_cndmask_b32_e64 v2, v4, v2, s[0:1]
	v_mov_b32_e32 v4, 0xff
	v_cndmask_b32_e64 v4, v5, v4, s[0:1]
	v_lshlrev_b32_e32 v4, 2, v4
	ds_write_b32 v4, v2 offset:18432
	v_add_u32_e32 v2, v6, v26
	s_waitcnt lgkmcnt(0)
	s_barrier
	v_lshlrev_b32_e32 v5, 2, v0
	v_lshlrev_b32_e32 v4, 2, v2
	ds_read_b32 v17, v3
	ds_read_b32 v29, v5 offset:19456
	ds_read_b32 v30, v4 offset:19456
	s_waitcnt lgkmcnt(2)
	v_cmp_le_i32_sdwa s[6:7], v17, v6 src0_sel:WORD_0 src1_sel:DWORD
	v_cmp_le_i32_sdwa s[4:5], sext(v17), v0 src0_sel:WORD_1 src1_sel:DWORD
	s_waitcnt lgkmcnt(0)
	v_cmp_lt_i32_e32 vcc, v30, v29
	v_mov_b32_e32 v31, v29
	v_cndmask_b32_e64 v6, 0, 1, s[4:5]
	v_cndmask_b32_e64 v3, 0, 1, vcc
	s_or_b64 vcc, s[4:5], s[6:7]
	v_cndmask_b32_e32 v3, v3, v6, vcc
	v_and_b32_e32 v3, 1, v3
	v_cmp_eq_u32_e64 s[2:3], 1, v3
	s_xor_b64 s[10:11], s[2:3], -1
	s_and_saveexec_b64 s[8:9], s[10:11]
; %bb.72:
	v_add_u32_e32 v3, 0x4800, v5
	ds_read_b32 v31, v3 offset:1028
	v_add_u32_e32 v0, 1, v0
; %bb.73:
	s_or_b64 exec, exec, s[8:9]
	s_xor_b64 s[8:9], s[4:5], -1
	v_cmp_lt_i32_e64 s[4:5], v29, v30
	v_mov_b32_e32 v32, v30
	s_nop 0
	v_cndmask_b32_e64 v3, 0, 1, s[4:5]
	s_and_b64 s[4:5], s[6:7], s[8:9]
	v_cndmask_b32_e64 v5, 0, 1, s[4:5]
	v_cndmask_b32_e32 v3, v3, v5, vcc
	v_and_b32_e32 v3, 1, v3
	v_cmp_eq_u32_e32 vcc, 1, v3
	s_xor_b64 s[6:7], vcc, -1
	s_and_saveexec_b64 s[4:5], s[6:7]
; %bb.74:
	v_add_u32_e32 v3, 0x4800, v4
	ds_read_b32 v32, v3 offset:1028
	v_add_u32_e32 v2, 1, v2
; %bb.75:
	s_or_b64 exec, exec, s[4:5]
	v_add_u32_sdwa v28, v17, v26 dst_sel:DWORD dst_unused:UNUSED_PAD src0_sel:WORD_0 src1_sel:DWORD
	v_cmp_ge_i32_e32 vcc, v2, v28
	v_cmp_ge_i32_sdwa s[8:9], v0, sext(v17) src0_sel:DWORD src1_sel:WORD_1
	s_waitcnt lgkmcnt(0)
	v_cmp_lt_i32_e64 s[4:5], v32, v31
	v_mov_b32_e32 v33, v31
	v_cndmask_b32_e64 v3, 0, 1, s[8:9]
	v_cndmask_b32_e64 v4, 0, 1, s[4:5]
	s_or_b64 s[4:5], s[8:9], vcc
	v_cndmask_b32_e64 v3, v4, v3, s[4:5]
	v_and_b32_e32 v3, 1, v3
	v_cmp_eq_u32_e64 s[4:5], 1, v3
	s_xor_b64 s[10:11], s[4:5], -1
	v_mov_b32_e32 v3, v0
	s_and_saveexec_b64 s[6:7], s[10:11]
; %bb.76:
	v_lshlrev_b32_e32 v3, 2, v0
	ds_read_b32 v33, v3 offset:19460
	v_add_u32_e32 v3, 1, v0
; %bb.77:
	s_or_b64 exec, exec, s[6:7]
	v_cmp_lt_i32_e64 s[6:7], v31, v32
	s_or_b64 s[6:7], vcc, s[6:7]
	s_xor_b64 s[8:9], s[8:9], -1
	s_and_b64 s[6:7], s[8:9], s[6:7]
	s_xor_b64 s[8:9], s[6:7], -1
	v_mov_b32_e32 v34, v32
	v_mov_b32_e32 v4, v2
	s_and_saveexec_b64 s[6:7], s[8:9]
; %bb.78:
	v_lshlrev_b32_e32 v4, 2, v2
	ds_read_b32 v34, v4 offset:19460
	v_add_u32_e32 v4, 1, v2
; %bb.79:
	s_or_b64 exec, exec, s[6:7]
	v_cmp_ge_i32_e32 vcc, v4, v28
	v_cmp_ge_i32_sdwa s[10:11], v3, sext(v17) src0_sel:DWORD src1_sel:WORD_1
	s_waitcnt lgkmcnt(0)
	v_cmp_lt_i32_e64 s[6:7], v34, v33
	v_mov_b32_e32 v35, v33
	v_cndmask_b32_e64 v5, 0, 1, s[10:11]
	v_cndmask_b32_e64 v6, 0, 1, s[6:7]
	s_or_b64 s[6:7], s[10:11], vcc
	v_cndmask_b32_e64 v5, v6, v5, s[6:7]
	v_and_b32_e32 v5, 1, v5
	v_cmp_eq_u32_e64 s[6:7], 1, v5
	s_xor_b64 s[12:13], s[6:7], -1
	v_mov_b32_e32 v5, v3
	s_and_saveexec_b64 s[8:9], s[12:13]
; %bb.80:
	v_lshlrev_b32_e32 v5, 2, v3
	ds_read_b32 v35, v5 offset:19460
	v_add_u32_e32 v5, 1, v3
; %bb.81:
	s_or_b64 exec, exec, s[8:9]
	v_cmp_lt_i32_e64 s[8:9], v33, v34
	s_or_b64 s[8:9], vcc, s[8:9]
	s_xor_b64 s[10:11], s[10:11], -1
	s_and_b64 s[8:9], s[10:11], s[8:9]
	s_xor_b64 s[10:11], s[8:9], -1
	v_mov_b32_e32 v36, v34
	v_mov_b32_e32 v6, v4
	s_and_saveexec_b64 s[8:9], s[10:11]
; %bb.82:
	v_lshlrev_b32_e32 v6, 2, v4
	ds_read_b32 v36, v6 offset:19460
	v_add_u32_e32 v6, 1, v4
; %bb.83:
	s_or_b64 exec, exec, s[8:9]
	;; [unrolled: 34-line block ×8, first 2 shown]
	v_cmp_ge_i32_e32 vcc, v24, v28
	v_cmp_ge_i32_sdwa s[24:25], v23, sext(v17) src0_sel:DWORD src1_sel:WORD_1
	s_waitcnt lgkmcnt(0)
	v_cmp_lt_i32_e64 s[20:21], v48, v47
	v_cndmask_b32_e64 v25, 0, 1, s[24:25]
	s_nop 0
	v_cndmask_b32_e64 v49, 0, 1, s[20:21]
	s_or_b64 s[20:21], s[24:25], vcc
	v_cndmask_b32_e64 v25, v49, v25, s[20:21]
	v_and_b32_e32 v25, 1, v25
	v_cmp_eq_u32_e64 s[20:21], 1, v25
	s_xor_b64 s[26:27], s[20:21], -1
	v_mov_b32_e32 v49, v47
	v_mov_b32_e32 v25, v23
	s_and_saveexec_b64 s[22:23], s[26:27]
; %bb.108:
	v_lshlrev_b32_e32 v25, 2, v23
	ds_read_b32 v49, v25 offset:19460
	v_add_u32_e32 v25, 1, v23
; %bb.109:
	s_or_b64 exec, exec, s[22:23]
	v_cmp_lt_i32_e64 s[22:23], v47, v48
	s_or_b64 s[22:23], vcc, s[22:23]
	s_xor_b64 s[24:25], s[24:25], -1
	s_and_b64 s[22:23], s[24:25], s[22:23]
	s_xor_b64 s[24:25], s[22:23], -1
	v_mov_b32_e32 v50, v48
	v_mov_b32_e32 v63, v24
	s_and_saveexec_b64 s[22:23], s[24:25]
; %bb.110:
	v_lshlrev_b32_e32 v50, 2, v24
	ds_read_b32 v50, v50 offset:19460
	v_add_u32_e32 v63, 1, v24
; %bb.111:
	s_or_b64 exec, exec, s[22:23]
	v_cmp_ge_i32_e32 vcc, v63, v28
	v_cmp_ge_i32_sdwa s[26:27], v25, sext(v17) src0_sel:DWORD src1_sel:WORD_1
	s_waitcnt lgkmcnt(0)
	v_cmp_lt_i32_e64 s[22:23], v50, v49
	v_mov_b32_e32 v64, v25
	v_cndmask_b32_e64 v51, 0, 1, s[26:27]
	v_cndmask_b32_e64 v52, 0, 1, s[22:23]
	s_or_b64 s[22:23], s[26:27], vcc
	v_cndmask_b32_e64 v51, v52, v51, s[22:23]
	v_and_b32_e32 v51, 1, v51
	v_cmp_eq_u32_e64 s[22:23], 1, v51
	s_xor_b64 s[28:29], s[22:23], -1
	v_mov_b32_e32 v51, v49
	s_and_saveexec_b64 s[24:25], s[28:29]
; %bb.112:
	v_lshlrev_b32_e32 v51, 2, v25
	ds_read_b32 v51, v51 offset:19460
	v_add_u32_e32 v64, 1, v25
; %bb.113:
	s_or_b64 exec, exec, s[24:25]
	v_cmp_lt_i32_e64 s[24:25], v49, v50
	s_or_b64 s[24:25], vcc, s[24:25]
	s_xor_b64 s[26:27], s[26:27], -1
	s_and_b64 s[24:25], s[26:27], s[24:25]
	s_xor_b64 s[26:27], s[24:25], -1
	v_mov_b32_e32 v52, v50
	v_mov_b32_e32 v65, v63
	s_and_saveexec_b64 s[24:25], s[26:27]
; %bb.114:
	v_lshlrev_b32_e32 v52, 2, v63
	ds_read_b32 v52, v52 offset:19460
	v_add_u32_e32 v65, 1, v63
; %bb.115:
	s_or_b64 exec, exec, s[24:25]
	v_cmp_ge_i32_e32 vcc, v65, v28
	v_cmp_ge_i32_sdwa s[28:29], v64, sext(v17) src0_sel:DWORD src1_sel:WORD_1
	s_waitcnt lgkmcnt(0)
	v_cmp_lt_i32_e64 s[24:25], v52, v51
	v_mov_b32_e32 v66, v64
	v_cndmask_b32_e64 v53, 0, 1, s[28:29]
	v_cndmask_b32_e64 v54, 0, 1, s[24:25]
	s_or_b64 s[24:25], s[28:29], vcc
	v_cndmask_b32_e64 v53, v54, v53, s[24:25]
	v_and_b32_e32 v53, 1, v53
	v_cmp_eq_u32_e64 s[24:25], 1, v53
	s_xor_b64 s[30:31], s[24:25], -1
	;; [unrolled: 34-line block ×4, first 2 shown]
	v_mov_b32_e32 v57, v55
	s_and_saveexec_b64 s[30:31], s[36:37]
; %bb.124:
	v_lshlrev_b32_e32 v57, 2, v68
	ds_read_b32 v57, v57 offset:19460
	v_add_u32_e32 v70, 1, v68
; %bb.125:
	s_or_b64 exec, exec, s[30:31]
	v_cmp_lt_i32_e64 s[30:31], v55, v56
	s_or_b64 s[30:31], vcc, s[30:31]
	s_xor_b64 s[34:35], s[34:35], -1
	s_and_b64 s[30:31], s[34:35], s[30:31]
	s_xor_b64 s[34:35], s[30:31], -1
	v_mov_b32_e32 v58, v56
	v_mov_b32_e32 v71, v69
	s_and_saveexec_b64 s[30:31], s[34:35]
; %bb.126:
	v_lshlrev_b32_e32 v58, 2, v69
	ds_read_b32 v58, v58 offset:19460
	v_add_u32_e32 v71, 1, v69
; %bb.127:
	s_or_b64 exec, exec, s[30:31]
	v_cmp_ge_i32_e32 vcc, v71, v28
	v_cmp_ge_i32_sdwa s[36:37], v70, sext(v17) src0_sel:DWORD src1_sel:WORD_1
	s_waitcnt lgkmcnt(0)
	v_cmp_lt_i32_e64 s[30:31], v58, v57
	v_cndmask_b32_e64 v59, 0, 1, s[36:37]
	s_nop 0
	v_cndmask_b32_e64 v60, 0, 1, s[30:31]
	s_or_b64 s[30:31], s[36:37], vcc
	v_cndmask_b32_e64 v59, v60, v59, s[30:31]
	v_and_b32_e32 v59, 1, v59
	v_cmp_eq_u32_e64 s[30:31], 1, v59
	s_xor_b64 s[38:39], s[30:31], -1
	v_mov_b32_e32 v59, v57
	v_mov_b32_e32 v60, v70
	s_and_saveexec_b64 s[34:35], s[38:39]
; %bb.128:
	v_lshlrev_b32_e32 v59, 2, v70
	ds_read_b32 v59, v59 offset:19460
	v_add_u32_e32 v60, 1, v70
; %bb.129:
	s_or_b64 exec, exec, s[34:35]
	v_cmp_lt_i32_e64 s[34:35], v57, v58
	s_or_b64 s[34:35], vcc, s[34:35]
	s_xor_b64 s[36:37], s[36:37], -1
	s_and_b64 s[34:35], s[36:37], s[34:35]
	s_xor_b64 s[36:37], s[34:35], -1
	v_mov_b32_e32 v61, v58
	v_mov_b32_e32 v62, v71
	s_and_saveexec_b64 s[34:35], s[36:37]
; %bb.130:
	v_lshlrev_b32_e32 v61, 2, v71
	ds_read_b32 v61, v61 offset:19460
	v_add_u32_e32 v62, 1, v71
; %bb.131:
	s_or_b64 exec, exec, s[34:35]
	v_add_u32_e32 v72, v62, v60
	v_add_u32_sdwa v73, v28, sext(v17) dst_sel:DWORD dst_unused:UNUSED_PAD src0_sel:DWORD src1_sel:WORD_1
	v_mov_b32_e32 v74, 0x8000
	v_cmp_lt_i32_e32 vcc, v72, v73
	v_add_u32_e32 v70, v71, v70
	v_mov_b32_e32 v71, 0x4000
	v_cndmask_b32_e32 v72, 0, v74, vcc
	v_cmp_lt_i32_e32 vcc, v70, v73
	v_add_u32_e32 v68, v69, v68
	v_mov_b32_e32 v69, 0x2000
	v_cndmask_b32_e32 v70, 0, v71, vcc
	;; [unrolled: 4-line block ×6, first 2 shown]
	v_cmp_lt_i32_e32 vcc, v23, v73
	v_add_u32_e32 v15, v22, v15
	v_add_u32_e32 v3, v4, v3
	;; [unrolled: 1-line block ×4, first 2 shown]
	v_cndmask_b32_e32 v23, 0, v24, vcc
	v_mov_b32_e32 v22, 0x100
	v_cmp_lt_i32_e32 vcc, v15, v73
	v_add_u32_e32 v13, v14, v13
	v_add_u32_e32 v7, v8, v7
	v_add_u32_e32 v5, v6, v5
	v_cmp_lt_i32_e64 s[40:41], v3, v73
	v_cmp_lt_i32_e64 s[42:43], v0, v73
	;; [unrolled: 1-line block ×3, first 2 shown]
	v_cndmask_b32_e32 v15, 0, v22, vcc
	v_mov_b32_e32 v14, 0x80
	v_cmp_lt_i32_e32 vcc, v13, v73
	v_add_u32_e32 v11, v12, v11
	v_add_u32_e32 v9, v10, v9
	v_cmp_lt_i32_e64 s[36:37], v7, v73
	v_cmp_lt_i32_e64 s[38:39], v5, v73
	v_cndmask_b32_e64 v3, 0, 4, s[40:41]
	v_cndmask_b32_e64 v0, 0, 2, s[42:43]
	;; [unrolled: 1-line block ×3, first 2 shown]
	v_cndmask_b32_e32 v13, 0, v14, vcc
	v_cmp_lt_i32_e32 vcc, v11, v73
	v_cmp_lt_i32_e64 s[34:35], v9, v73
	v_cndmask_b32_e64 v7, 0, 16, s[36:37]
	v_cndmask_b32_e64 v5, 0, 8, s[38:39]
	v_or3_b32 v0, v0, v1, v3
	v_cndmask_b32_e64 v11, 0, 64, vcc
	v_cndmask_b32_e64 v9, 0, 32, s[34:35]
	v_or3_b32 v0, v0, v5, v7
	v_or3_b32 v68, v0, v9, v11
	v_or_b32_e32 v67, v13, v68
	v_or3_b32 v66, v15, v23, v67
	v_or3_b32 v65, v25, v64, v66
	;; [unrolled: 1-line block ×4, first 2 shown]
	v_bcnt_u32_b32 v8, v63, 0
	s_cmp_lg_u32 s58, 0
	v_mov_b32_e32 v9, 0
	s_waitcnt lgkmcnt(0)
	s_barrier
	s_cbranch_scc0 .LBB21_159
; %bb.132:
	v_mbcnt_lo_u32_b32 v0, -1, 0
	v_mbcnt_hi_u32_b32 v24, -1, v0
	v_mov_b32_e32 v1, v9
	v_mov_b32_dpp v0, v8 row_shr:1 row_mask:0xf bank_mask:0xf
	v_and_b32_e32 v4, 15, v24
	v_mov_b32_dpp v3, v9 row_shr:1 row_mask:0xf bank_mask:0xf
	v_mov_b32_e32 v2, v9
	v_lshl_add_u64 v[0:1], v[0:1], 0, v[8:9]
	v_lshl_add_u64 v[2:3], v[2:3], 0, v[0:1]
	v_cmp_eq_u32_e32 vcc, 0, v4
	v_and_b32_e32 v7, 16, v24
	v_cmp_eq_u32_e64 s[46:47], 0, v24
	v_cndmask_b32_e64 v1, v3, 0, vcc
	v_cndmask_b32_e32 v5, v0, v8, vcc
	v_cndmask_b32_e32 v0, v2, v8, vcc
	v_mov_b32_dpp v3, v1 row_shr:2 row_mask:0xf bank_mask:0xf
	v_mov_b32_dpp v2, v5 row_shr:2 row_mask:0xf bank_mask:0xf
	v_lshl_add_u64 v[2:3], v[2:3], 0, v[0:1]
	v_cmp_lt_u32_e32 vcc, 1, v4
	v_cmp_ne_u32_e64 s[48:49], 0, v24
	s_nop 0
	v_cndmask_b32_e32 v1, v1, v3, vcc
	v_cndmask_b32_e32 v5, v5, v2, vcc
	;; [unrolled: 1-line block ×3, first 2 shown]
	v_mov_b32_dpp v3, v1 row_shr:4 row_mask:0xf bank_mask:0xf
	v_mov_b32_dpp v2, v5 row_shr:4 row_mask:0xf bank_mask:0xf
	v_lshl_add_u64 v[2:3], v[2:3], 0, v[0:1]
	v_cmp_lt_u32_e32 vcc, 3, v4
	s_nop 1
	v_cndmask_b32_e32 v1, v1, v3, vcc
	v_cndmask_b32_e32 v5, v5, v2, vcc
	;; [unrolled: 1-line block ×3, first 2 shown]
	v_mov_b32_dpp v3, v1 row_shr:8 row_mask:0xf bank_mask:0xf
	v_mov_b32_dpp v2, v5 row_shr:8 row_mask:0xf bank_mask:0xf
	v_lshl_add_u64 v[2:3], v[2:3], 0, v[0:1]
	v_cmp_lt_u32_e32 vcc, 7, v4
	s_nop 1
	v_cndmask_b32_e32 v3, v1, v3, vcc
	v_cndmask_b32_e32 v6, v5, v2, vcc
	;; [unrolled: 1-line block ×3, first 2 shown]
	v_mov_b32_dpp v1, v3 row_bcast:15 row_mask:0xf bank_mask:0xf
	v_mov_b32_dpp v0, v6 row_bcast:15 row_mask:0xf bank_mask:0xf
	v_lshl_add_u64 v[4:5], v[0:1], 0, v[2:3]
	v_cmp_eq_u32_e32 vcc, 0, v7
	s_nop 1
	v_cndmask_b32_e32 v0, v5, v3, vcc
	v_cndmask_b32_e32 v1, v4, v6, vcc
	s_nop 0
	v_mov_b32_dpp v7, v0 row_bcast:31 row_mask:0xf bank_mask:0xf
	v_mov_b32_dpp v6, v1 row_bcast:31 row_mask:0xf bank_mask:0xf
	v_mov_b64_e32 v[0:1], v[8:9]
	s_and_saveexec_b64 s[50:51], s[48:49]
; %bb.133:
	v_cndmask_b32_e32 v1, v5, v3, vcc
	v_cndmask_b32_e32 v0, v4, v2, vcc
	v_cmp_lt_u32_e32 vcc, 31, v24
	s_nop 1
	v_cndmask_b32_e32 v3, 0, v7, vcc
	v_cndmask_b32_e32 v2, 0, v6, vcc
	v_lshl_add_u64 v[0:1], v[2:3], 0, v[0:1]
; %bb.134:
	s_or_b64 exec, exec, s[50:51]
	v_and_b32_e32 v3, 0x3c0, v16
	v_min_u32_e32 v3, 0xc0, v3
	v_lshrrev_b32_e32 v2, 6, v16
	v_or_b32_e32 v3, 63, v3
	v_cmp_eq_u32_e32 vcc, v16, v3
	v_lshlrev_b32_e32 v2, 3, v2
	s_and_saveexec_b64 s[48:49], vcc
; %bb.135:
	ds_write_b64 v2, v[0:1] offset:18432
; %bb.136:
	s_or_b64 exec, exec, s[48:49]
	v_cmp_gt_u32_e32 vcc, 4, v16
	s_waitcnt lgkmcnt(0)
	s_barrier
	s_and_saveexec_b64 s[50:51], vcc
	s_cbranch_execz .LBB21_138
; %bb.137:
	v_lshlrev_b32_e32 v3, 3, v16
	ds_read_b64 v[4:5], v3 offset:18432
	v_mov_b32_e32 v6, 0
	v_mov_b32_e32 v11, v6
	v_and_b32_e32 v12, 3, v24
	v_cmp_eq_u32_e32 vcc, 0, v12
	s_waitcnt lgkmcnt(0)
	v_mov_b32_dpp v10, v4 row_shr:1 row_mask:0xf bank_mask:0xf
	v_mov_b32_dpp v7, v5 row_shr:1 row_mask:0xf bank_mask:0xf
	v_lshl_add_u64 v[10:11], v[4:5], 0, v[10:11]
	v_lshl_add_u64 v[6:7], v[6:7], 0, v[10:11]
	v_cndmask_b32_e32 v11, v7, v5, vcc
	v_cndmask_b32_e32 v10, v10, v4, vcc
	v_cmp_ne_u32_e64 s[48:49], 1, v12
	v_mov_b32_dpp v11, v11 row_shr:2 row_mask:0xf bank_mask:0xf
	v_mov_b32_dpp v10, v10 row_shr:2 row_mask:0xf bank_mask:0xf
	v_cndmask_b32_e64 v10, 0, v10, s[48:49]
	v_cndmask_b32_e64 v11, 0, v11, s[48:49]
	v_lshl_add_u64 v[6:7], v[10:11], 0, v[6:7]
	v_cndmask_b32_e32 v5, v7, v5, vcc
	v_cndmask_b32_e32 v4, v6, v4, vcc
	ds_write_b64 v3, v[4:5] offset:18432
.LBB21_138:
	s_or_b64 exec, exec, s[50:51]
	v_cmp_gt_u32_e32 vcc, 64, v16
	v_cmp_lt_u32_e64 s[48:49], 63, v16
	s_waitcnt lgkmcnt(0)
	s_barrier
                                        ; implicit-def: $vgpr10_vgpr11
	s_and_saveexec_b64 s[50:51], s[48:49]
	s_cbranch_execz .LBB21_140
; %bb.139:
	ds_read_b64 v[10:11], v2 offset:18424
	s_waitcnt lgkmcnt(0)
	v_lshl_add_u64 v[0:1], v[10:11], 0, v[0:1]
.LBB21_140:
	s_or_b64 exec, exec, s[50:51]
	v_add_u32_e32 v1, -1, v24
	v_and_b32_e32 v2, 64, v24
	v_cmp_lt_i32_e64 s[48:49], v1, v2
	s_nop 1
	v_cndmask_b32_e64 v1, v1, v24, s[48:49]
	v_lshlrev_b32_e32 v1, 2, v1
	ds_bpermute_b32 v69, v1, v0
	s_and_saveexec_b64 s[60:61], vcc
	s_cbranch_execz .LBB21_164
; %bb.141:
	v_mov_b32_e32 v3, 0
	ds_read_b64 v[0:1], v3 offset:18456
	s_and_saveexec_b64 s[48:49], s[46:47]
	s_cbranch_execz .LBB21_143
; %bb.142:
	s_add_i32 s50, s58, 64
	s_mov_b32 s51, 0
	s_lshl_b64 s[50:51], s[50:51], 4
	s_add_u32 s50, s56, s50
	s_addc_u32 s51, s57, s51
	v_mov_b32_e32 v2, 1
	v_mov_b64_e32 v[4:5], s[50:51]
	s_waitcnt lgkmcnt(0)
	;;#ASMSTART
	global_store_dwordx4 v[4:5], v[0:3] off sc1	
s_waitcnt vmcnt(0)
	;;#ASMEND
.LBB21_143:
	s_or_b64 exec, exec, s[48:49]
	v_xad_u32 v12, v24, -1, s58
	v_add_u32_e32 v2, 64, v12
	v_lshl_add_u64 v[14:15], v[2:3], 4, s[56:57]
	;;#ASMSTART
	global_load_dwordx4 v[4:7], v[14:15] off sc1	
s_waitcnt vmcnt(0)
	;;#ASMEND
	s_nop 0
	v_cmp_eq_u16_sdwa s[50:51], v6, v3 src0_sel:BYTE_0 src1_sel:DWORD
	s_and_saveexec_b64 s[48:49], s[50:51]
	s_cbranch_execz .LBB21_147
; %bb.144:
	s_mov_b64 s[50:51], 0
	v_mov_b32_e32 v2, 0
.LBB21_145:                             ; =>This Inner Loop Header: Depth=1
	;;#ASMSTART
	global_load_dwordx4 v[4:7], v[14:15] off sc1	
s_waitcnt vmcnt(0)
	;;#ASMEND
	s_nop 0
	v_cmp_ne_u16_sdwa s[62:63], v6, v2 src0_sel:BYTE_0 src1_sel:DWORD
	s_or_b64 s[50:51], s[62:63], s[50:51]
	s_andn2_b64 exec, exec, s[50:51]
	s_cbranch_execnz .LBB21_145
; %bb.146:
	s_or_b64 exec, exec, s[50:51]
.LBB21_147:
	s_or_b64 exec, exec, s[48:49]
	v_mov_b32_e32 v70, 2
	v_cmp_eq_u16_sdwa s[48:49], v6, v70 src0_sel:BYTE_0 src1_sel:DWORD
	v_lshlrev_b64 v[14:15], v24, -1
	v_and_b32_e32 v71, 63, v24
	v_and_b32_e32 v2, s49, v15
	v_or_b32_e32 v2, 0x80000000, v2
	v_and_b32_e32 v3, s48, v14
	v_ffbl_b32_e32 v2, v2
	v_add_u32_e32 v2, 32, v2
	v_ffbl_b32_e32 v3, v3
	v_cmp_ne_u32_e32 vcc, 63, v71
	v_min_u32_e32 v7, v3, v2
	v_mov_b32_e32 v13, 0
	v_addc_co_u32_e32 v2, vcc, 0, v24, vcc
	v_lshlrev_b32_e32 v72, 2, v2
	ds_bpermute_b32 v2, v72, v4
	ds_bpermute_b32 v23, v72, v5
	v_mov_b32_e32 v3, v13
	v_mov_b32_e32 v22, v13
	v_cmp_lt_u32_e64 s[48:49], v71, v7
	s_waitcnt lgkmcnt(1)
	v_lshl_add_u64 v[2:3], v[4:5], 0, v[2:3]
	v_cmp_gt_u32_e32 vcc, 62, v71
	s_waitcnt lgkmcnt(0)
	v_lshl_add_u64 v[22:23], v[22:23], 0, v[2:3]
	v_cndmask_b32_e64 v25, v4, v2, s[48:49]
	v_cndmask_b32_e64 v2, 0, 2, vcc
	v_cndmask_b32_e64 v3, v5, v23, s[48:49]
	v_add_lshl_u32 v73, v2, v24, 2
	ds_bpermute_b32 v76, v73, v25
	ds_bpermute_b32 v77, v73, v3
	v_cndmask_b32_e64 v2, v4, v22, s[48:49]
	v_add_u32_e32 v74, 2, v71
	v_cmp_gt_u32_e32 vcc, v74, v7
	v_cmp_gt_u32_e64 s[50:51], 60, v71
	s_waitcnt lgkmcnt(0)
	v_lshl_add_u64 v[22:23], v[76:77], 0, v[2:3]
	v_cndmask_b32_e32 v3, v23, v3, vcc
	v_cndmask_b32_e64 v23, 0, 4, s[50:51]
	v_cndmask_b32_e32 v25, v22, v25, vcc
	v_add_lshl_u32 v75, v23, v24, 2
	ds_bpermute_b32 v78, v75, v25
	ds_bpermute_b32 v79, v75, v3
	v_cndmask_b32_e32 v2, v22, v2, vcc
	v_add_u32_e32 v76, 4, v71
	v_cmp_gt_u32_e32 vcc, v76, v7
	v_cmp_gt_u32_e64 s[50:51], 56, v71
	s_waitcnt lgkmcnt(0)
	v_lshl_add_u64 v[22:23], v[78:79], 0, v[2:3]
	v_cndmask_b32_e32 v3, v23, v3, vcc
	v_cndmask_b32_e64 v23, 0, 8, s[50:51]
	v_cndmask_b32_e32 v25, v22, v25, vcc
	v_add_lshl_u32 v77, v23, v24, 2
	ds_bpermute_b32 v80, v77, v25
	ds_bpermute_b32 v81, v77, v3
	v_cndmask_b32_e32 v2, v22, v2, vcc
	;; [unrolled: 12-line block ×3, first 2 shown]
	v_add_u32_e32 v80, 16, v71
	v_cmp_gt_u32_e32 vcc, v80, v7
	v_mov_b32_e32 v81, 0x80
	s_waitcnt lgkmcnt(0)
	v_lshl_add_u64 v[22:23], v[82:83], 0, v[2:3]
	v_cndmask_b32_e32 v82, v23, v3, vcc
	v_cndmask_b32_e32 v25, v22, v25, vcc
	v_lshl_or_b32 v81, v24, 2, v81
	ds_bpermute_b32 v24, v81, v25
	ds_bpermute_b32 v25, v81, v82
	v_add_u32_e32 v82, 32, v71
	s_and_saveexec_b64 s[50:51], s[48:49]
	s_cbranch_execz .LBB21_149
; %bb.148:
	v_cndmask_b32_e32 v3, v23, v3, vcc
	v_cndmask_b32_e32 v2, v22, v2, vcc
	v_cmp_le_u32_e32 vcc, v82, v7
	s_waitcnt lgkmcnt(0)
	s_nop 0
	v_cndmask_b32_e32 v5, 0, v25, vcc
	v_cndmask_b32_e32 v4, 0, v24, vcc
	v_lshl_add_u64 v[4:5], v[4:5], 0, v[2:3]
.LBB21_149:
	s_or_b64 exec, exec, s[50:51]
	s_branch .LBB21_152
.LBB21_150:                             ;   in Loop: Header=BB21_152 Depth=1
	s_or_b64 exec, exec, s[50:51]
	v_subrev_u32_e32 v12, 64, v12
	v_lshl_add_u64 v[4:5], v[4:5], 0, v[2:3]
	s_mov_b64 s[48:49], 0
.LBB21_151:                             ;   in Loop: Header=BB21_152 Depth=1
	s_and_b64 vcc, exec, s[48:49]
	s_cbranch_vccnz .LBB21_160
.LBB21_152:                             ; =>This Loop Header: Depth=1
                                        ;     Child Loop BB21_155 Depth 2
	v_cmp_ne_u16_sdwa s[48:49], v6, v70 src0_sel:BYTE_0 src1_sel:DWORD
	v_mov_b64_e32 v[2:3], v[4:5]
	s_cmp_lg_u64 s[48:49], exec
	s_mov_b64 s[48:49], -1
                                        ; implicit-def: $vgpr4_vgpr5
	s_cbranch_scc1 .LBB21_151
; %bb.153:                              ;   in Loop: Header=BB21_152 Depth=1
	v_lshl_add_u64 v[22:23], v[12:13], 4, s[56:57]
	;;#ASMSTART
	global_load_dwordx4 v[4:7], v[22:23] off sc1	
s_waitcnt vmcnt(0)
	;;#ASMEND
	s_nop 0
	v_cmp_eq_u16_sdwa s[50:51], v6, v13 src0_sel:BYTE_0 src1_sel:DWORD
	s_and_saveexec_b64 s[48:49], s[50:51]
	s_cbranch_execz .LBB21_157
; %bb.154:                              ;   in Loop: Header=BB21_152 Depth=1
	s_mov_b64 s[50:51], 0
.LBB21_155:                             ;   Parent Loop BB21_152 Depth=1
                                        ; =>  This Inner Loop Header: Depth=2
	;;#ASMSTART
	global_load_dwordx4 v[4:7], v[22:23] off sc1	
s_waitcnt vmcnt(0)
	;;#ASMEND
	s_nop 0
	v_cmp_ne_u16_sdwa s[62:63], v6, v13 src0_sel:BYTE_0 src1_sel:DWORD
	s_or_b64 s[50:51], s[62:63], s[50:51]
	s_andn2_b64 exec, exec, s[50:51]
	s_cbranch_execnz .LBB21_155
; %bb.156:                              ;   in Loop: Header=BB21_152 Depth=1
	s_or_b64 exec, exec, s[50:51]
.LBB21_157:                             ;   in Loop: Header=BB21_152 Depth=1
	s_or_b64 exec, exec, s[48:49]
	v_cmp_eq_u16_sdwa s[48:49], v6, v70 src0_sel:BYTE_0 src1_sel:DWORD
	s_waitcnt lgkmcnt(0)
	ds_bpermute_b32 v25, v72, v5
	v_mov_b32_e32 v24, v13
	v_and_b32_e32 v22, s48, v14
	v_and_b32_e32 v7, s49, v15
	v_ffbl_b32_e32 v23, v22
	ds_bpermute_b32 v22, v72, v4
	v_or_b32_e32 v7, 0x80000000, v7
	v_ffbl_b32_e32 v7, v7
	v_add_u32_e32 v7, 32, v7
	v_min_u32_e32 v7, v23, v7
	v_mov_b32_e32 v23, v13
	s_waitcnt lgkmcnt(0)
	v_lshl_add_u64 v[22:23], v[4:5], 0, v[22:23]
	v_lshl_add_u64 v[24:25], v[24:25], 0, v[22:23]
	v_cmp_lt_u32_e64 s[48:49], v71, v7
	v_cmp_gt_u32_e32 vcc, v74, v7
	s_nop 0
	v_cndmask_b32_e64 v83, v4, v22, s[48:49]
	v_cndmask_b32_e64 v23, v5, v25, s[48:49]
	ds_bpermute_b32 v84, v73, v83
	ds_bpermute_b32 v85, v73, v23
	v_cndmask_b32_e64 v22, v4, v24, s[48:49]
	s_waitcnt lgkmcnt(0)
	v_lshl_add_u64 v[24:25], v[84:85], 0, v[22:23]
	v_cndmask_b32_e32 v83, v24, v83, vcc
	v_cndmask_b32_e32 v23, v25, v23, vcc
	ds_bpermute_b32 v84, v75, v83
	ds_bpermute_b32 v85, v75, v23
	v_cndmask_b32_e32 v22, v24, v22, vcc
	v_cmp_gt_u32_e32 vcc, v76, v7
	s_waitcnt lgkmcnt(0)
	v_lshl_add_u64 v[24:25], v[84:85], 0, v[22:23]
	v_cndmask_b32_e32 v83, v24, v83, vcc
	v_cndmask_b32_e32 v23, v25, v23, vcc
	ds_bpermute_b32 v84, v77, v83
	ds_bpermute_b32 v85, v77, v23
	v_cndmask_b32_e32 v22, v24, v22, vcc
	v_cmp_gt_u32_e32 vcc, v78, v7
	;; [unrolled: 8-line block ×3, first 2 shown]
	s_waitcnt lgkmcnt(0)
	v_lshl_add_u64 v[24:25], v[84:85], 0, v[22:23]
	v_cndmask_b32_e32 v84, v25, v23, vcc
	v_cndmask_b32_e32 v83, v24, v83, vcc
	ds_bpermute_b32 v83, v81, v83
	ds_bpermute_b32 v84, v81, v84
	s_and_saveexec_b64 s[50:51], s[48:49]
	s_cbranch_execz .LBB21_150
; %bb.158:                              ;   in Loop: Header=BB21_152 Depth=1
	v_cndmask_b32_e32 v5, v25, v23, vcc
	v_cndmask_b32_e32 v4, v24, v22, vcc
	v_cmp_le_u32_e32 vcc, v82, v7
	s_waitcnt lgkmcnt(0)
	s_nop 0
	v_cndmask_b32_e32 v23, 0, v84, vcc
	v_cndmask_b32_e32 v22, 0, v83, vcc
	v_lshl_add_u64 v[4:5], v[22:23], 0, v[4:5]
	s_branch .LBB21_150
.LBB21_159:
                                        ; implicit-def: $vgpr0_vgpr1
                                        ; implicit-def: $vgpr4_vgpr5
	s_movk_i32 s33, 0x4820
	s_cbranch_execnz .LBB21_165
	s_branch .LBB21_174
.LBB21_160:
	s_and_saveexec_b64 s[48:49], s[46:47]
	s_cbranch_execz .LBB21_162
; %bb.161:
	s_add_i32 s50, s58, 64
	s_mov_b32 s51, 0
	s_lshl_b64 s[50:51], s[50:51], 4
	s_add_u32 s50, s56, s50
	s_addc_u32 s51, s57, s51
	v_lshl_add_u64 v[4:5], v[2:3], 0, v[0:1]
	v_mov_b32_e32 v6, 2
	v_mov_b32_e32 v7, 0
	v_mov_b64_e32 v[12:13], s[50:51]
	;;#ASMSTART
	global_store_dwordx4 v[12:13], v[4:7] off sc1	
s_waitcnt vmcnt(0)
	;;#ASMEND
	ds_write_b128 v7, v[0:3] offset:18464
.LBB21_162:
	s_or_b64 exec, exec, s[48:49]
	s_and_b64 exec, exec, s[0:1]
; %bb.163:
	v_mov_b32_e32 v0, 0
	ds_write_b64 v0, v[2:3] offset:18456
.LBB21_164:
	s_or_b64 exec, exec, s[60:61]
	v_mov_b32_e32 v0, 0
	s_waitcnt lgkmcnt(0)
	s_barrier
	ds_read_b64 v[2:3], v0 offset:18456
	s_waitcnt lgkmcnt(0)
	s_barrier
	ds_read_b64 v[0:1], v0 offset:18472
	v_cndmask_b32_e64 v4, v69, v10, s[46:47]
	v_cndmask_b32_e64 v5, 0, v11, s[46:47]
	;; [unrolled: 1-line block ×4, first 2 shown]
	v_lshl_add_u64 v[4:5], v[2:3], 0, v[4:5]
	s_movk_i32 s33, 0x4820
	s_branch .LBB21_174
.LBB21_165:
	s_waitcnt lgkmcnt(0)
	v_mov_b32_e32 v0, 0
	v_mbcnt_lo_u32_b32 v1, -1, 0
	v_mbcnt_hi_u32_b32 v4, -1, v1
	v_mov_b32_dpp v2, v8 row_shr:1 row_mask:0xf bank_mask:0xf
	v_mov_b32_e32 v3, v0
	v_and_b32_e32 v5, 15, v4
	v_mov_b32_dpp v1, v0 row_shr:1 row_mask:0xf bank_mask:0xf
	v_lshl_add_u64 v[2:3], v[2:3], 0, v[8:9]
	v_lshl_add_u64 v[0:1], v[0:1], 0, v[2:3]
	v_cmp_eq_u32_e32 vcc, 0, v5
	v_cmp_ne_u32_e64 s[48:49], 0, v4
	s_nop 0
	v_cndmask_b32_e64 v1, v1, 0, vcc
	v_cndmask_b32_e32 v6, v2, v8, vcc
	v_cndmask_b32_e32 v0, v0, v8, vcc
	v_mov_b32_dpp v3, v1 row_shr:2 row_mask:0xf bank_mask:0xf
	v_mov_b32_dpp v2, v6 row_shr:2 row_mask:0xf bank_mask:0xf
	v_lshl_add_u64 v[2:3], v[2:3], 0, v[0:1]
	v_cmp_lt_u32_e32 vcc, 1, v5
	s_nop 1
	v_cndmask_b32_e32 v1, v1, v3, vcc
	v_cndmask_b32_e32 v6, v6, v2, vcc
	v_cndmask_b32_e32 v0, v0, v2, vcc
	v_mov_b32_dpp v3, v1 row_shr:4 row_mask:0xf bank_mask:0xf
	v_mov_b32_dpp v2, v6 row_shr:4 row_mask:0xf bank_mask:0xf
	v_lshl_add_u64 v[2:3], v[2:3], 0, v[0:1]
	v_cmp_lt_u32_e32 vcc, 3, v5
	s_nop 1
	v_cndmask_b32_e32 v1, v1, v3, vcc
	;; [unrolled: 8-line block ×3, first 2 shown]
	v_cndmask_b32_e32 v5, v6, v2, vcc
	v_cndmask_b32_e32 v0, v0, v2, vcc
	v_mov_b32_dpp v3, v1 row_bcast:15 row_mask:0xf bank_mask:0xf
	v_mov_b32_dpp v2, v5 row_bcast:15 row_mask:0xf bank_mask:0xf
	v_and_b32_e32 v6, 16, v4
	v_lshl_add_u64 v[2:3], v[2:3], 0, v[0:1]
	v_cmp_eq_u32_e64 s[46:47], 0, v6
	v_cmp_eq_u32_e32 vcc, 0, v4
	s_nop 0
	v_cndmask_b32_e64 v6, v3, v1, s[46:47]
	v_cndmask_b32_e64 v5, v2, v5, s[46:47]
	s_nop 0
	v_mov_b32_dpp v6, v6 row_bcast:31 row_mask:0xf bank_mask:0xf
	v_mov_b32_dpp v5, v5 row_bcast:31 row_mask:0xf bank_mask:0xf
	s_and_saveexec_b64 s[50:51], s[48:49]
; %bb.166:
	v_cndmask_b32_e64 v1, v3, v1, s[46:47]
	v_cndmask_b32_e64 v0, v2, v0, s[46:47]
	v_cmp_lt_u32_e64 s[46:47], 31, v4
	s_nop 1
	v_cndmask_b32_e64 v3, 0, v6, s[46:47]
	v_cndmask_b32_e64 v2, 0, v5, s[46:47]
	v_lshl_add_u64 v[8:9], v[2:3], 0, v[0:1]
; %bb.167:
	s_or_b64 exec, exec, s[50:51]
	v_and_b32_e32 v1, 0x3c0, v16
	v_min_u32_e32 v1, 0xc0, v1
	v_lshrrev_b32_e32 v0, 6, v16
	v_or_b32_e32 v1, 63, v1
	v_cmp_eq_u32_e64 s[46:47], v16, v1
	v_lshlrev_b32_e32 v5, 3, v0
	s_and_saveexec_b64 s[48:49], s[46:47]
; %bb.168:
	ds_write_b64 v5, v[8:9] offset:18432
; %bb.169:
	s_or_b64 exec, exec, s[48:49]
	v_cmp_gt_u32_e64 s[46:47], 4, v16
	s_waitcnt lgkmcnt(0)
	s_barrier
	s_and_saveexec_b64 s[50:51], s[46:47]
	s_cbranch_execz .LBB21_171
; %bb.170:
	v_lshlrev_b32_e32 v9, 3, v16
	ds_read_b64 v[0:1], v9 offset:18432
	v_mov_b32_e32 v2, 0
	v_mov_b32_e32 v7, v2
	v_and_b32_e32 v10, 3, v4
	v_cmp_eq_u32_e64 s[46:47], 0, v10
	s_waitcnt lgkmcnt(0)
	v_mov_b32_dpp v6, v0 row_shr:1 row_mask:0xf bank_mask:0xf
	v_mov_b32_dpp v3, v1 row_shr:1 row_mask:0xf bank_mask:0xf
	v_lshl_add_u64 v[6:7], v[0:1], 0, v[6:7]
	v_lshl_add_u64 v[2:3], v[2:3], 0, v[6:7]
	v_cndmask_b32_e64 v7, v3, v1, s[46:47]
	v_cndmask_b32_e64 v6, v6, v0, s[46:47]
	v_cmp_ne_u32_e64 s[48:49], 1, v10
	v_mov_b32_dpp v7, v7 row_shr:2 row_mask:0xf bank_mask:0xf
	v_mov_b32_dpp v6, v6 row_shr:2 row_mask:0xf bank_mask:0xf
	v_cndmask_b32_e64 v6, 0, v6, s[48:49]
	v_cndmask_b32_e64 v7, 0, v7, s[48:49]
	v_lshl_add_u64 v[2:3], v[6:7], 0, v[2:3]
	v_cndmask_b32_e64 v1, v3, v1, s[46:47]
	v_cndmask_b32_e64 v0, v2, v0, s[46:47]
	ds_write_b64 v9, v[0:1] offset:18432
.LBB21_171:
	s_or_b64 exec, exec, s[50:51]
	v_cmp_lt_u32_e64 s[46:47], 63, v16
	v_mov_b64_e32 v[0:1], 0
	v_mov_b64_e32 v[2:3], 0
	s_waitcnt lgkmcnt(0)
	s_barrier
	s_and_saveexec_b64 s[48:49], s[46:47]
; %bb.172:
	ds_read_b64 v[2:3], v5 offset:18424
; %bb.173:
	s_or_b64 exec, exec, s[48:49]
	v_add_u32_e32 v5, -1, v4
	v_and_b32_e32 v6, 64, v4
	v_cmp_lt_i32_e64 s[46:47], v5, v6
	s_waitcnt lgkmcnt(0)
	v_add_u32_e32 v3, v2, v8
	s_movk_i32 s33, 0x4818
	v_cndmask_b32_e64 v4, v5, v4, s[46:47]
	v_lshlrev_b32_e32 v4, 2, v4
	ds_bpermute_b32 v3, v4, v3
	s_waitcnt lgkmcnt(0)
	v_cndmask_b32_e32 v4, v3, v2, vcc
.LBB21_174:
	v_mov_b32_e32 v2, s33
	ds_read_b64 v[2:3], v2
	s_waitcnt lgkmcnt(1)
	v_sub_u32_e32 v4, v4, v0
	s_waitcnt lgkmcnt(0)
	s_barrier
	s_and_saveexec_b64 s[46:47], s[44:45]
	s_cbranch_execnz .LBB21_225
; %bb.175:
	s_or_b64 exec, exec, s[46:47]
	s_and_saveexec_b64 s[2:3], s[42:43]
	s_cbranch_execnz .LBB21_226
.LBB21_176:
	s_or_b64 exec, exec, s[2:3]
	s_and_saveexec_b64 s[2:3], s[40:41]
	s_cbranch_execnz .LBB21_227
.LBB21_177:
	s_or_b64 exec, exec, s[2:3]
	s_and_saveexec_b64 s[2:3], s[38:39]
	s_cbranch_execnz .LBB21_228
.LBB21_178:
	s_or_b64 exec, exec, s[2:3]
	s_and_saveexec_b64 s[2:3], s[36:37]
	s_cbranch_execnz .LBB21_229
.LBB21_179:
	s_or_b64 exec, exec, s[2:3]
	s_and_saveexec_b64 s[2:3], s[34:35]
.LBB21_180:
	v_cndmask_b32_e64 v5, v39, v40, s[12:13]
	v_lshlrev_b32_e32 v6, 2, v4
	v_add_u32_e32 v4, 1, v4
	ds_write_b32 v6, v5 offset:19456
.LBB21_181:
	s_or_b64 exec, exec, s[2:3]
	v_and_b32_e32 v5, 64, v68
	v_cmp_ne_u32_e32 vcc, 0, v5
	s_and_saveexec_b64 s[2:3], vcc
; %bb.182:
	v_cndmask_b32_e64 v5, v41, v42, s[14:15]
	v_lshlrev_b32_e32 v6, 2, v4
	v_add_u32_e32 v4, 1, v4
	ds_write_b32 v6, v5 offset:19456
; %bb.183:
	s_or_b64 exec, exec, s[2:3]
	v_and_b32_e32 v5, 0x80, v67
	v_cmp_ne_u32_e32 vcc, 0, v5
	s_and_saveexec_b64 s[2:3], vcc
; %bb.184:
	v_cndmask_b32_e64 v5, v43, v44, s[16:17]
	v_lshlrev_b32_e32 v6, 2, v4
	v_add_u32_e32 v4, 1, v4
	ds_write_b32 v6, v5 offset:19456
; %bb.185:
	;; [unrolled: 10-line block ×9, first 2 shown]
	s_or_b64 exec, exec, s[2:3]
	v_and_b32_e32 v5, 0x8000, v63
	v_cmp_ne_u32_e32 vcc, 0, v5
	s_and_saveexec_b64 s[4:5], vcc
	s_cbranch_execz .LBB21_201
; %bb.200:
	v_cmp_lt_i32_e32 vcc, v61, v59
	v_cmp_lt_i32_e64 s[2:3], v62, v28
	v_cmp_ge_i32_sdwa s[6:7], v60, sext(v17) src0_sel:DWORD src1_sel:WORD_1
	s_and_b64 s[2:3], s[2:3], vcc
	s_or_b64 vcc, s[6:7], s[2:3]
	v_cndmask_b32_e32 v5, v59, v61, vcc
	v_lshlrev_b32_e32 v4, 2, v4
	ds_write_b32 v4, v5 offset:19456
.LBB21_201:
	s_or_b64 exec, exec, s[4:5]
	v_cmp_lt_i32_e32 vcc, v16, v2
	s_waitcnt lgkmcnt(0)
	s_barrier
	s_and_saveexec_b64 s[2:3], vcc
	s_cbranch_execz .LBB21_209
; %bb.202:
	v_xad_u32 v8, v16, -1, v2
	s_movk_i32 s4, 0xff
	v_cmp_lt_u32_e32 vcc, s4, v8
	s_mov_b64 s[6:7], -1
	v_lshlrev_b64 v[4:5], 2, v[0:1]
	v_mov_b32_e32 v6, v16
	s_and_saveexec_b64 s[4:5], vcc
	s_cbranch_execz .LBB21_206
; %bb.203:
	v_lshrrev_b32_e32 v8, 8, v8
	v_add_u32_e32 v12, 1, v8
	v_and_b32_e32 v13, 0x1fffffe, v12
	v_add_u32_e32 v17, 0x100, v16
	v_mov_b32_e32 v8, 0x4c00
	v_lshl_add_u64 v[6:7], s[52:53], 0, v[4:5]
	v_lshl_add_u32 v14, v16, 2, v8
	s_mov_b64 s[6:7], 0
	v_mov_b32_e32 v9, 0
	v_mov_b32_e32 v15, v13
	v_mov_b64_e32 v[10:11], v[16:17]
.LBB21_204:                             ; =>This Inner Loop Header: Depth=1
	ds_read2st64_b32 v[22:23], v14 offset1:4
	v_add_u32_e32 v15, -2, v15
	v_mov_b32_e32 v8, v10
	v_cmp_eq_u32_e32 vcc, 0, v15
	v_add_u32_e32 v10, 0x200, v10
	v_add_u32_e32 v14, 0x800, v14
	v_lshl_add_u64 v[24:25], v[8:9], 2, v[6:7]
	v_mov_b32_e32 v8, v11
	v_add_u32_e32 v11, 0x200, v11
	s_or_b64 s[6:7], vcc, s[6:7]
	v_lshl_add_u64 v[28:29], v[8:9], 2, v[6:7]
	s_waitcnt lgkmcnt(0)
	global_store_dword v[24:25], v22, off
	global_store_dword v[28:29], v23, off
	s_andn2_b64 exec, exec, s[6:7]
	s_cbranch_execnz .LBB21_204
; %bb.205:
	s_or_b64 exec, exec, s[6:7]
	v_cmp_ne_u32_e32 vcc, v12, v13
	v_lshl_add_u32 v6, v13, 8, v16
	s_orn2_b64 s[6:7], vcc, exec
.LBB21_206:
	s_or_b64 exec, exec, s[4:5]
	s_and_b64 exec, exec, s[6:7]
	s_cbranch_execz .LBB21_209
; %bb.207:
	v_mov_b32_e32 v7, 0x4c00
	v_lshl_add_u32 v8, v6, 2, v7
	v_mov_b32_e32 v7, 0
	v_lshl_add_u64 v[4:5], s[52:53], 0, v[4:5]
	v_lshl_add_u64 v[4:5], v[6:7], 2, v[4:5]
	s_mov_b64 s[4:5], 0
	s_mov_b64 s[6:7], 0x400
.LBB21_208:                             ; =>This Inner Loop Header: Depth=1
	ds_read_b32 v7, v8
	v_add_u32_e32 v6, 0x100, v6
	v_cmp_ge_i32_e32 vcc, v6, v2
	v_add_u32_e32 v8, 0x400, v8
	s_or_b64 s[4:5], vcc, s[4:5]
	s_waitcnt lgkmcnt(0)
	global_store_dword v[4:5], v7, off
	v_lshl_add_u64 v[4:5], v[4:5], 0, s[6:7]
	s_andn2_b64 exec, exec, s[4:5]
	s_cbranch_execnz .LBB21_208
.LBB21_209:
	s_or_b64 exec, exec, s[2:3]
	s_and_saveexec_b64 s[2:3], s[0:1]
	s_cbranch_execz .LBB21_211
; %bb.210:
	v_mov_b32_e32 v4, 0
	v_lshl_add_u64 v[0:1], v[2:3], 0, v[0:1]
	global_store_dwordx2 v4, v[0:1], s[54:55]
.LBB21_211:
	s_or_b64 exec, exec, s[2:3]
	s_mov_b64 s[0:1], 0
.LBB21_212:
	s_and_b64 vcc, exec, s[0:1]
	s_cbranch_vccz .LBB21_396
; %bb.213:
	v_mov_b32_e32 v17, 0
	v_lshlrev_b32_e32 v0, 2, v16
	v_mov_b32_e32 v1, v17
	v_sub_u32_e32 v4, v16, v26
	v_mov_b32_e32 v5, v17
	v_lshl_add_u64 v[2:3], v[20:21], 0, v[0:1]
	v_lshl_add_u64 v[4:5], v[4:5], 2, v[18:19]
	v_cmp_lt_i32_e32 vcc, v16, v26
	v_add_u32_e32 v8, 0x100, v16
	s_mov_b64 s[0:1], 0x400
	v_cndmask_b32_e32 v5, v5, v3, vcc
	v_cndmask_b32_e32 v4, v4, v2, vcc
	v_sub_u32_e32 v6, v8, v26
	v_mov_b32_e32 v7, v17
	global_load_dword v1, v[4:5], off
	v_lshl_add_u64 v[4:5], v[2:3], 0, s[0:1]
	v_lshl_add_u64 v[6:7], v[6:7], 2, v[18:19]
	v_cmp_lt_i32_e32 vcc, v8, v26
	s_mov_b64 s[0:1], 0x800
	v_mov_b32_e32 v9, v17
	v_cndmask_b32_e32 v5, v7, v5, vcc
	v_cndmask_b32_e32 v4, v6, v4, vcc
	global_load_dword v4, v[4:5], off
	v_add_u32_e32 v5, 0x200, v16
	v_sub_u32_e32 v8, v5, v26
	v_lshl_add_u64 v[6:7], v[2:3], 0, s[0:1]
	v_lshl_add_u64 v[8:9], v[8:9], 2, v[18:19]
	v_cmp_lt_i32_e32 vcc, v5, v26
	v_add_u32_e32 v10, 0x300, v16
	s_mov_b64 s[0:1], 0xc00
	v_cndmask_b32_e32 v7, v9, v7, vcc
	v_cndmask_b32_e32 v6, v8, v6, vcc
	v_sub_u32_e32 v8, v10, v26
	v_mov_b32_e32 v9, v17
	global_load_dword v5, v[6:7], off
	v_lshl_add_u64 v[6:7], v[2:3], 0, s[0:1]
	v_lshl_add_u64 v[8:9], v[8:9], 2, v[18:19]
	v_cmp_lt_i32_e32 vcc, v10, v26
	v_mov_b32_e32 v11, v17
	v_add_u32_e32 v12, 0x500, v16
	v_cndmask_b32_e32 v7, v9, v7, vcc
	v_cndmask_b32_e32 v6, v8, v6, vcc
	global_load_dword v6, v[6:7], off
	v_or_b32_e32 v7, 0x400, v16
	v_lshlrev_b32_e32 v8, 2, v7
	v_mov_b32_e32 v9, v17
	v_sub_u32_e32 v10, v7, v26
	v_lshl_add_u64 v[8:9], v[20:21], 0, v[8:9]
	v_lshl_add_u64 v[10:11], v[10:11], 2, v[18:19]
	v_cmp_lt_i32_e32 vcc, v7, v26
	s_mov_b64 s[0:1], 0x1400
	v_mov_b32_e32 v13, v17
	v_cndmask_b32_e32 v9, v11, v9, vcc
	v_cndmask_b32_e32 v8, v10, v8, vcc
	v_sub_u32_e32 v10, v12, v26
	v_mov_b32_e32 v11, v17
	global_load_dword v7, v[8:9], off
	v_lshl_add_u64 v[8:9], v[2:3], 0, s[0:1]
	v_lshl_add_u64 v[10:11], v[10:11], 2, v[18:19]
	v_cmp_lt_i32_e32 vcc, v12, v26
	s_mov_b64 s[0:1], 0x1800
	v_add_u32_e32 v14, 0x700, v16
	v_cndmask_b32_e32 v9, v11, v9, vcc
	v_cndmask_b32_e32 v8, v10, v8, vcc
	global_load_dword v8, v[8:9], off
	v_add_u32_e32 v9, 0x600, v16
	v_sub_u32_e32 v12, v9, v26
	v_lshl_add_u64 v[10:11], v[2:3], 0, s[0:1]
	v_lshl_add_u64 v[12:13], v[12:13], 2, v[18:19]
	v_cmp_lt_i32_e32 vcc, v9, v26
	s_mov_b64 s[0:1], 0x1c00
	v_mov_b32_e32 v15, v17
	v_cndmask_b32_e32 v11, v13, v11, vcc
	v_cndmask_b32_e32 v10, v12, v10, vcc
	v_sub_u32_e32 v12, v14, v26
	v_mov_b32_e32 v13, v17
	global_load_dword v9, v[10:11], off
	v_lshl_add_u64 v[10:11], v[2:3], 0, s[0:1]
	v_lshl_add_u64 v[12:13], v[12:13], 2, v[18:19]
	v_cmp_lt_i32_e32 vcc, v14, v26
	v_add_u32_e32 v22, 0x900, v16
	s_mov_b64 s[0:1], 0x2400
	v_cndmask_b32_e32 v11, v13, v11, vcc
	v_cndmask_b32_e32 v10, v12, v10, vcc
	global_load_dword v10, v[10:11], off
	v_or_b32_e32 v11, 0x800, v16
	v_lshlrev_b32_e32 v12, 2, v11
	v_mov_b32_e32 v13, v17
	v_sub_u32_e32 v14, v11, v26
	v_lshl_add_u64 v[12:13], v[20:21], 0, v[12:13]
	v_lshl_add_u64 v[14:15], v[14:15], 2, v[18:19]
	v_cmp_lt_i32_e32 vcc, v11, v26
	v_mov_b32_e32 v23, v17
	v_add_u32_e32 v24, 0xb00, v16
	v_cndmask_b32_e32 v13, v15, v13, vcc
	v_cndmask_b32_e32 v12, v14, v12, vcc
	v_sub_u32_e32 v14, v22, v26
	v_mov_b32_e32 v15, v17
	global_load_dword v11, v[12:13], off
	v_lshl_add_u64 v[12:13], v[2:3], 0, s[0:1]
	v_lshl_add_u64 v[14:15], v[14:15], 2, v[18:19]
	v_cmp_lt_i32_e32 vcc, v22, v26
	s_mov_b64 s[0:1], 0x2800
	v_mov_b32_e32 v25, v17
	v_cndmask_b32_e32 v13, v15, v13, vcc
	v_cndmask_b32_e32 v12, v14, v12, vcc
	global_load_dword v12, v[12:13], off
	v_add_u32_e32 v13, 0xa00, v16
	v_sub_u32_e32 v22, v13, v26
	v_lshl_add_u64 v[14:15], v[2:3], 0, s[0:1]
	v_lshl_add_u64 v[22:23], v[22:23], 2, v[18:19]
	v_cmp_lt_i32_e32 vcc, v13, v26
	s_mov_b64 s[0:1], 0x2c00
	s_nop 0
	v_cndmask_b32_e32 v15, v23, v15, vcc
	v_cndmask_b32_e32 v14, v22, v14, vcc
	v_sub_u32_e32 v22, v24, v26
	v_mov_b32_e32 v23, v17
	global_load_dword v13, v[14:15], off
	v_lshl_add_u64 v[14:15], v[2:3], 0, s[0:1]
	v_lshl_add_u64 v[22:23], v[22:23], 2, v[18:19]
	v_cmp_lt_i32_e32 vcc, v24, v26
	v_add_u32_e32 v24, 0xd00, v16
	s_mov_b64 s[0:1], 0x3400
	v_cndmask_b32_e32 v15, v23, v15, vcc
	v_cndmask_b32_e32 v14, v22, v14, vcc
	global_load_dword v14, v[14:15], off
	v_or_b32_e32 v15, 0xc00, v16
	v_lshlrev_b32_e32 v22, 2, v15
	v_mov_b32_e32 v23, v17
	v_lshl_add_u64 v[20:21], v[20:21], 0, v[22:23]
	v_sub_u32_e32 v22, v15, v26
	v_lshl_add_u64 v[22:23], v[22:23], 2, v[18:19]
	v_cmp_lt_i32_e32 vcc, v15, v26
	s_nop 1
	v_cndmask_b32_e32 v21, v23, v21, vcc
	v_cndmask_b32_e32 v20, v22, v20, vcc
	v_sub_u32_e32 v22, v24, v26
	v_mov_b32_e32 v23, v17
	global_load_dword v15, v[20:21], off
	v_lshl_add_u64 v[20:21], v[2:3], 0, s[0:1]
	v_lshl_add_u64 v[22:23], v[22:23], 2, v[18:19]
	v_cmp_lt_i32_e32 vcc, v24, v26
	s_mov_b64 s[0:1], 0x3800
	s_nop 0
	v_cndmask_b32_e32 v21, v23, v21, vcc
	v_cndmask_b32_e32 v20, v22, v20, vcc
	global_load_dword v20, v[20:21], off
	v_add_u32_e32 v21, 0xe00, v16
	v_sub_u32_e32 v24, v21, v26
	v_lshl_add_u64 v[22:23], v[2:3], 0, s[0:1]
	v_lshl_add_u64 v[24:25], v[24:25], 2, v[18:19]
	v_cmp_lt_i32_e32 vcc, v21, v26
	v_add_u32_e32 v21, v27, v26
	s_nop 0
	v_cndmask_b32_e32 v23, v25, v23, vcc
	v_cndmask_b32_e32 v22, v24, v22, vcc
	global_load_dword v22, v[22:23], off
	v_add_u32_e32 v24, 0xf00, v16
	v_cmp_lt_i32_e32 vcc, v24, v21
	v_mov_b32_e32 v23, 0
	s_and_saveexec_b64 s[0:1], vcc
	s_cbranch_execz .LBB21_215
; %bb.214:
	s_mov_b64 s[2:3], 0x3c00
	v_sub_u32_e32 v28, v24, v26
	v_mov_b32_e32 v29, 0
	v_lshl_add_u64 v[2:3], v[2:3], 0, s[2:3]
	v_lshl_add_u64 v[18:19], v[28:29], 2, v[18:19]
	v_cmp_lt_i32_e32 vcc, v24, v26
	s_nop 1
	v_cndmask_b32_e32 v3, v19, v3, vcc
	v_cndmask_b32_e32 v2, v18, v2, vcc
	global_load_dword v23, v[2:3], off
.LBB21_215:
	s_or_b64 exec, exec, s[0:1]
	s_waitcnt vmcnt(13)
	ds_write2st64_b32 v0, v1, v4 offset0:4 offset1:8
	s_waitcnt vmcnt(11)
	ds_write2st64_b32 v0, v5, v6 offset0:12 offset1:16
	;; [unrolled: 2-line block ×8, first 2 shown]
	v_lshlrev_b32_e32 v1, 4, v16
	v_min_i32_e32 v2, v21, v1
	v_sub_u32_e32 v1, v2, v27
	v_max_i32_e32 v1, 0, v1
	v_min_i32_e32 v4, v26, v2
	v_lshlrev_b32_e32 v3, 2, v26
	v_cmp_lt_i32_e32 vcc, v1, v4
	s_waitcnt lgkmcnt(0)
	s_barrier
	s_and_saveexec_b64 s[0:1], vcc
	s_cbranch_execz .LBB21_219
; %bb.216:
	v_lshl_add_u32 v5, v2, 2, v3
	v_add_u32_e32 v5, 0x400, v5
	s_mov_b64 s[2:3], 0
.LBB21_217:                             ; =>This Inner Loop Header: Depth=1
	v_add_u32_e32 v6, v4, v1
	v_lshrrev_b32_e32 v6, 1, v6
	v_not_b32_e32 v8, v6
	v_lshlrev_b32_e32 v7, 2, v6
	v_lshl_add_u32 v8, v8, 2, v5
	ds_read_b32 v7, v7 offset:1024
	ds_read_b32 v8, v8
	v_add_u32_e32 v9, 1, v6
	s_waitcnt lgkmcnt(0)
	v_cmp_lt_i32_e32 vcc, v8, v7
	s_nop 1
	v_cndmask_b32_e32 v4, v4, v6, vcc
	v_cndmask_b32_e32 v1, v9, v1, vcc
	v_cmp_ge_i32_e32 vcc, v1, v4
	s_or_b64 s[2:3], vcc, s[2:3]
	s_andn2_b64 exec, exec, s[2:3]
	s_cbranch_execnz .LBB21_217
; %bb.218:
	s_or_b64 exec, exec, s[2:3]
.LBB21_219:
	s_or_b64 exec, exec, s[0:1]
	v_sub_u32_e32 v7, v2, v1
	v_cmp_lt_i32_e32 vcc, v7, v27
	v_mov_b32_e32 v5, 0
	s_and_saveexec_b64 s[2:3], vcc
	s_cbranch_execz .LBB21_254
; %bb.220:
	v_lshl_add_u32 v5, v7, 2, v3
	ds_read_b32 v6, v5 offset:1024
	v_mov_b32_e32 v4, 0
	v_cmp_lt_i32_e32 vcc, 0, v1
	v_mov_b32_e32 v8, 0
	s_and_saveexec_b64 s[0:1], vcc
	s_cbranch_execnz .LBB21_230
; %bb.221:
	s_or_b64 exec, exec, s[0:1]
	v_cmp_lt_i32_e32 vcc, v4, v8
	s_and_saveexec_b64 s[0:1], vcc
	s_cbranch_execnz .LBB21_231
.LBB21_222:
	s_or_b64 exec, exec, s[0:1]
	v_cmp_lt_i32_e32 vcc, v4, v8
	s_and_saveexec_b64 s[0:1], vcc
	s_cbranch_execnz .LBB21_232
.LBB21_223:
	s_or_b64 exec, exec, s[0:1]
	v_cmp_lt_i32_e32 vcc, v4, v8
	s_and_saveexec_b64 s[0:1], vcc
	s_cbranch_execnz .LBB21_233
.LBB21_224:
	s_or_b64 exec, exec, s[0:1]
	v_cmp_lt_i32_e32 vcc, v4, v8
	s_and_saveexec_b64 s[0:1], vcc
	s_cbranch_execnz .LBB21_234
	s_branch .LBB21_237
.LBB21_225:
	v_cndmask_b32_e64 v5, v29, v30, s[2:3]
	v_lshlrev_b32_e32 v6, 2, v4
	v_add_u32_e32 v4, 1, v4
	ds_write_b32 v6, v5 offset:19456
	s_or_b64 exec, exec, s[46:47]
	s_and_saveexec_b64 s[2:3], s[42:43]
	s_cbranch_execz .LBB21_176
.LBB21_226:
	v_cndmask_b32_e64 v5, v31, v32, s[4:5]
	v_lshlrev_b32_e32 v6, 2, v4
	v_add_u32_e32 v4, 1, v4
	ds_write_b32 v6, v5 offset:19456
	s_or_b64 exec, exec, s[2:3]
	s_and_saveexec_b64 s[2:3], s[40:41]
	s_cbranch_execz .LBB21_177
.LBB21_227:
	v_cndmask_b32_e64 v5, v33, v34, s[6:7]
	v_lshlrev_b32_e32 v6, 2, v4
	v_add_u32_e32 v4, 1, v4
	ds_write_b32 v6, v5 offset:19456
	s_or_b64 exec, exec, s[2:3]
	s_and_saveexec_b64 s[2:3], s[38:39]
	s_cbranch_execz .LBB21_178
.LBB21_228:
	v_cndmask_b32_e64 v5, v35, v36, s[8:9]
	v_lshlrev_b32_e32 v6, 2, v4
	v_add_u32_e32 v4, 1, v4
	ds_write_b32 v6, v5 offset:19456
	s_or_b64 exec, exec, s[2:3]
	s_and_saveexec_b64 s[2:3], s[36:37]
	s_cbranch_execz .LBB21_179
.LBB21_229:
	v_cndmask_b32_e64 v5, v37, v38, s[10:11]
	v_lshlrev_b32_e32 v6, 2, v4
	v_add_u32_e32 v4, 1, v4
	ds_write_b32 v6, v5 offset:19456
	s_or_b64 exec, exec, s[2:3]
	s_and_saveexec_b64 s[2:3], s[34:35]
	s_cbranch_execnz .LBB21_180
	s_branch .LBB21_181
.LBB21_230:
	s_movk_i32 s4, 0x1ff
	v_mul_lo_u32 v4, v1, s4
	v_ashrrev_i32_e32 v8, 9, v4
	v_lshlrev_b32_e32 v4, 2, v8
	ds_read_b32 v4, v4 offset:1024
	v_add_u32_e32 v9, 1, v8
	s_waitcnt lgkmcnt(0)
	v_cmp_lt_i32_e32 vcc, v4, v6
	s_nop 1
	v_cndmask_b32_e32 v4, 0, v9, vcc
	v_cndmask_b32_e32 v8, v8, v1, vcc
	s_or_b64 exec, exec, s[0:1]
	v_cmp_lt_i32_e32 vcc, v4, v8
	s_and_saveexec_b64 s[0:1], vcc
	s_cbranch_execz .LBB21_222
.LBB21_231:
	v_sub_u32_e32 v9, v4, v8
	v_lshl_add_u32 v9, v8, 7, v9
	v_ashrrev_i32_e32 v9, 7, v9
	v_lshlrev_b32_e32 v10, 2, v9
	ds_read_b32 v10, v10 offset:1024
	v_add_u32_e32 v11, 1, v9
	s_waitcnt lgkmcnt(0)
	v_cmp_lt_i32_e32 vcc, v10, v6
	s_nop 1
	v_cndmask_b32_e32 v4, v4, v11, vcc
	v_cndmask_b32_e32 v8, v9, v8, vcc
	s_or_b64 exec, exec, s[0:1]
	v_cmp_lt_i32_e32 vcc, v4, v8
	s_and_saveexec_b64 s[0:1], vcc
	s_cbranch_execz .LBB21_223
.LBB21_232:
	v_sub_u32_e32 v9, v4, v8
	v_lshl_add_u32 v9, v8, 5, v9
	v_ashrrev_i32_e32 v9, 5, v9
	v_lshlrev_b32_e32 v10, 2, v9
	ds_read_b32 v10, v10 offset:1024
	v_add_u32_e32 v11, 1, v9
	s_waitcnt lgkmcnt(0)
	v_cmp_lt_i32_e32 vcc, v10, v6
	s_nop 1
	v_cndmask_b32_e32 v4, v4, v11, vcc
	v_cndmask_b32_e32 v8, v9, v8, vcc
	s_or_b64 exec, exec, s[0:1]
	v_cmp_lt_i32_e32 vcc, v4, v8
	s_and_saveexec_b64 s[0:1], vcc
	s_cbranch_execz .LBB21_224
.LBB21_233:
	v_sub_u32_e32 v9, v4, v8
	v_lshl_add_u32 v9, v8, 4, v9
	v_ashrrev_i32_e32 v9, 4, v9
	v_lshlrev_b32_e32 v10, 2, v9
	ds_read_b32 v10, v10 offset:1024
	v_add_u32_e32 v11, 1, v9
	s_waitcnt lgkmcnt(0)
	v_cmp_lt_i32_e32 vcc, v10, v6
	s_nop 1
	v_cndmask_b32_e32 v4, v4, v11, vcc
	v_cndmask_b32_e32 v8, v9, v8, vcc
	s_or_b64 exec, exec, s[0:1]
	v_cmp_lt_i32_e32 vcc, v4, v8
	s_and_saveexec_b64 s[0:1], vcc
	s_cbranch_execz .LBB21_237
.LBB21_234:
	s_mov_b64 s[4:5], 0
.LBB21_235:                             ; =>This Inner Loop Header: Depth=1
	v_sub_u32_e32 v9, v4, v8
	v_lshl_add_u32 v9, v8, 1, v9
	v_ashrrev_i32_e32 v9, 1, v9
	v_lshlrev_b32_e32 v10, 2, v9
	ds_read_b32 v10, v10 offset:1024
	v_add_u32_e32 v11, 1, v9
	s_waitcnt lgkmcnt(0)
	v_cmp_lt_i32_e32 vcc, v10, v6
	s_nop 1
	v_cndmask_b32_e32 v4, v4, v11, vcc
	v_cndmask_b32_e32 v8, v9, v8, vcc
	v_cmp_ge_i32_e32 vcc, v4, v8
	s_or_b64 s[4:5], vcc, s[4:5]
	s_andn2_b64 exec, exec, s[4:5]
	s_cbranch_execnz .LBB21_235
; %bb.236:
	s_or_b64 exec, exec, s[4:5]
.LBB21_237:
	s_or_b64 exec, exec, s[0:1]
	v_mov_b32_e32 v8, 0
	v_cmp_lt_i32_e32 vcc, 0, v7
	v_mov_b32_e32 v9, v7
	s_and_saveexec_b64 s[0:1], vcc
	s_cbranch_execnz .LBB21_242
; %bb.238:
	s_or_b64 exec, exec, s[0:1]
	v_cmp_lt_i32_e32 vcc, v8, v9
	s_and_saveexec_b64 s[0:1], vcc
	s_cbranch_execnz .LBB21_243
.LBB21_239:
	s_or_b64 exec, exec, s[0:1]
	v_cmp_lt_i32_e32 vcc, v8, v9
	s_and_saveexec_b64 s[0:1], vcc
	s_cbranch_execnz .LBB21_244
.LBB21_240:
	s_or_b64 exec, exec, s[0:1]
	v_cmp_lt_i32_e32 vcc, v8, v9
	s_and_saveexec_b64 s[0:1], vcc
	s_cbranch_execnz .LBB21_245
.LBB21_241:
	s_or_b64 exec, exec, s[0:1]
	v_cmp_lt_i32_e32 vcc, v8, v9
	s_and_saveexec_b64 s[0:1], vcc
	s_cbranch_execnz .LBB21_246
	s_branch .LBB21_249
.LBB21_242:
	s_movk_i32 s4, 0x1ff
	v_mul_lo_u32 v8, v7, s4
	v_lshrrev_b32_e32 v9, 9, v8
	v_lshl_add_u32 v8, v9, 2, v3
	ds_read_b32 v8, v8 offset:1024
	v_add_u32_e32 v10, 1, v9
	s_waitcnt lgkmcnt(0)
	v_cmp_lt_i32_e32 vcc, v8, v6
	s_nop 1
	v_cndmask_b32_e32 v8, 0, v10, vcc
	v_cndmask_b32_e32 v9, v9, v7, vcc
	s_or_b64 exec, exec, s[0:1]
	v_cmp_lt_i32_e32 vcc, v8, v9
	s_and_saveexec_b64 s[0:1], vcc
	s_cbranch_execz .LBB21_239
.LBB21_243:
	v_sub_u32_e32 v10, v8, v9
	v_lshl_add_u32 v10, v9, 7, v10
	v_ashrrev_i32_e32 v10, 7, v10
	v_lshl_add_u32 v11, v10, 2, v3
	ds_read_b32 v11, v11 offset:1024
	v_add_u32_e32 v12, 1, v10
	s_waitcnt lgkmcnt(0)
	v_cmp_lt_i32_e32 vcc, v11, v6
	s_nop 1
	v_cndmask_b32_e32 v8, v8, v12, vcc
	v_cndmask_b32_e32 v9, v10, v9, vcc
	s_or_b64 exec, exec, s[0:1]
	v_cmp_lt_i32_e32 vcc, v8, v9
	s_and_saveexec_b64 s[0:1], vcc
	s_cbranch_execz .LBB21_240
.LBB21_244:
	v_sub_u32_e32 v10, v8, v9
	v_lshl_add_u32 v10, v9, 5, v10
	v_ashrrev_i32_e32 v10, 5, v10
	v_lshl_add_u32 v11, v10, 2, v3
	ds_read_b32 v11, v11 offset:1024
	v_add_u32_e32 v12, 1, v10
	s_waitcnt lgkmcnt(0)
	v_cmp_lt_i32_e32 vcc, v11, v6
	s_nop 1
	v_cndmask_b32_e32 v8, v8, v12, vcc
	v_cndmask_b32_e32 v9, v10, v9, vcc
	s_or_b64 exec, exec, s[0:1]
	v_cmp_lt_i32_e32 vcc, v8, v9
	s_and_saveexec_b64 s[0:1], vcc
	s_cbranch_execz .LBB21_241
.LBB21_245:
	v_sub_u32_e32 v10, v8, v9
	v_lshl_add_u32 v10, v9, 4, v10
	v_ashrrev_i32_e32 v10, 4, v10
	v_lshl_add_u32 v11, v10, 2, v3
	ds_read_b32 v11, v11 offset:1024
	v_add_u32_e32 v12, 1, v10
	s_waitcnt lgkmcnt(0)
	v_cmp_lt_i32_e32 vcc, v11, v6
	s_nop 1
	v_cndmask_b32_e32 v8, v8, v12, vcc
	v_cndmask_b32_e32 v9, v10, v9, vcc
	s_or_b64 exec, exec, s[0:1]
	v_cmp_lt_i32_e32 vcc, v8, v9
	s_and_saveexec_b64 s[0:1], vcc
	s_cbranch_execz .LBB21_249
.LBB21_246:
	s_mov_b64 s[4:5], 0
.LBB21_247:                             ; =>This Inner Loop Header: Depth=1
	v_sub_u32_e32 v10, v8, v9
	v_lshl_add_u32 v10, v9, 1, v10
	v_ashrrev_i32_e32 v10, 1, v10
	v_lshl_add_u32 v11, v10, 2, v3
	ds_read_b32 v11, v11 offset:1024
	v_add_u32_e32 v12, 1, v10
	s_waitcnt lgkmcnt(0)
	v_cmp_lt_i32_e32 vcc, v11, v6
	s_nop 1
	v_cndmask_b32_e32 v8, v8, v12, vcc
	v_cndmask_b32_e32 v9, v10, v9, vcc
	v_cmp_ge_i32_e32 vcc, v8, v9
	s_or_b64 s[4:5], vcc, s[4:5]
	s_andn2_b64 exec, exec, s[4:5]
	s_cbranch_execnz .LBB21_247
; %bb.248:
	s_or_b64 exec, exec, s[4:5]
.LBB21_249:
	s_or_b64 exec, exec, s[0:1]
	v_sub_u32_e32 v1, v1, v4
	v_sub_u32_e32 v10, v7, v8
	v_add_u32_e32 v9, v10, v1
	v_ashrrev_i32_e32 v1, 1, v9
	v_max_i32_e32 v1, v1, v10
	v_add3_u32 v8, v8, v1, 1
	v_min_i32_e32 v8, v8, v27
	v_sub_u32_e32 v8, v8, v7
	v_mov_b32_e32 v7, 0
	v_cmp_lt_i32_e32 vcc, 0, v8
	s_and_saveexec_b64 s[0:1], vcc
	s_cbranch_execz .LBB21_253
; %bb.250:
	v_mov_b32_e32 v7, 0
	s_mov_b64 s[4:5], 0
.LBB21_251:                             ; =>This Inner Loop Header: Depth=1
	v_add_u32_e32 v11, v7, v8
	v_lshrrev_b32_e32 v11, 1, v11
	v_lshl_add_u32 v12, v11, 2, v5
	ds_read_b32 v12, v12 offset:1024
	v_add_u32_e32 v13, 1, v11
	s_waitcnt lgkmcnt(0)
	v_cmp_lt_i32_e32 vcc, v6, v12
	s_nop 1
	v_cndmask_b32_e32 v7, v13, v7, vcc
	v_cndmask_b32_e32 v8, v8, v11, vcc
	v_cmp_ge_i32_e32 vcc, v7, v8
	s_or_b64 s[4:5], vcc, s[4:5]
	s_andn2_b64 exec, exec, s[4:5]
	s_cbranch_execnz .LBB21_251
; %bb.252:
	s_or_b64 exec, exec, s[4:5]
.LBB21_253:
	s_or_b64 exec, exec, s[0:1]
	v_add_u32_e32 v5, v7, v10
	s_waitcnt lgkmcnt(0)
	v_min_i32_e32 v6, v5, v1
	v_sub_u32_e32 v7, v9, v6
	v_add_u32_e32 v6, 1, v6
	v_cmp_eq_u32_e32 vcc, v7, v6
	v_cmp_lt_i32_e64 s[0:1], v1, v5
	s_and_b64 s[0:1], s[0:1], vcc
	v_add_u32_e32 v1, v7, v4
	v_cndmask_b32_e64 v5, 0, 1, s[0:1]
.LBB21_254:
	s_or_b64 exec, exec, s[2:3]
	v_add_u32_e32 v2, v5, v2
	v_sub_u32_e32 v4, v2, v1
	v_lshlrev_b32_e32 v5, 16, v26
	v_or_b32_e32 v5, v5, v27
	v_lshl_or_b32 v6, v1, 16, v4
	v_subrev_co_u32_e64 v7, s[2:3], 1, v16
	v_lshl_add_u32 v3, v4, 2, v3
	s_nop 0
	v_cndmask_b32_e64 v5, v6, v5, s[2:3]
	v_mov_b32_e32 v6, 0xff
	v_cndmask_b32_e64 v6, v7, v6, s[2:3]
	v_lshlrev_b32_e32 v6, 2, v6
	ds_write_b32 v6, v5
	s_waitcnt lgkmcnt(0)
	s_barrier
	v_lshlrev_b32_e32 v5, 2, v1
	ds_read_b32 v22, v0
	ds_read_b32 v24, v5 offset:1024
	ds_read_b32 v25, v3 offset:1024
	s_waitcnt lgkmcnt(2)
	v_cmp_le_i32_sdwa s[6:7], v22, v4 src0_sel:WORD_0 src1_sel:DWORD
	v_cmp_le_i32_sdwa s[4:5], sext(v22), v1 src0_sel:WORD_1 src1_sel:DWORD
	s_waitcnt lgkmcnt(0)
	v_cmp_lt_i32_e32 vcc, v25, v24
	v_mov_b32_e32 v27, v24
	v_cndmask_b32_e64 v6, 0, 1, s[4:5]
	v_cndmask_b32_e64 v0, 0, 1, vcc
	s_or_b64 vcc, s[4:5], s[6:7]
	v_cndmask_b32_e32 v0, v0, v6, vcc
	v_and_b32_e32 v0, 1, v0
	v_cmp_eq_u32_e64 s[0:1], 1, v0
	s_xor_b64 s[10:11], s[0:1], -1
	s_and_saveexec_b64 s[8:9], s[10:11]
; %bb.255:
	ds_read_b32 v27, v5 offset:1028
	v_add_u32_e32 v1, 1, v1
; %bb.256:
	s_or_b64 exec, exec, s[8:9]
	s_xor_b64 s[8:9], s[4:5], -1
	v_cmp_lt_i32_e64 s[4:5], v24, v25
	v_add_u32_e32 v0, v4, v26
	v_mov_b32_e32 v28, v25
	v_cndmask_b32_e64 v4, 0, 1, s[4:5]
	s_and_b64 s[4:5], s[6:7], s[8:9]
	v_cndmask_b32_e64 v5, 0, 1, s[4:5]
	v_cndmask_b32_e32 v4, v4, v5, vcc
	v_and_b32_e32 v4, 1, v4
	v_cmp_eq_u32_e32 vcc, 1, v4
	s_xor_b64 s[6:7], vcc, -1
	s_and_saveexec_b64 s[4:5], s[6:7]
; %bb.257:
	ds_read_b32 v28, v3 offset:1028
	v_add_u32_e32 v0, 1, v0
; %bb.258:
	s_or_b64 exec, exec, s[4:5]
	v_add_u32_sdwa v23, v22, v26 dst_sel:DWORD dst_unused:UNUSED_PAD src0_sel:WORD_0 src1_sel:DWORD
	v_cmp_ge_i32_e32 vcc, v0, v23
	v_cmp_ge_i32_sdwa s[8:9], v1, sext(v22) src0_sel:DWORD src1_sel:WORD_1
	s_waitcnt lgkmcnt(0)
	v_cmp_lt_i32_e64 s[4:5], v28, v27
	v_mov_b32_e32 v29, v27
	v_cndmask_b32_e64 v3, 0, 1, s[8:9]
	v_cndmask_b32_e64 v4, 0, 1, s[4:5]
	s_or_b64 s[4:5], s[8:9], vcc
	v_cndmask_b32_e64 v3, v4, v3, s[4:5]
	v_and_b32_e32 v3, 1, v3
	v_cmp_eq_u32_e64 s[4:5], 1, v3
	s_xor_b64 s[10:11], s[4:5], -1
	v_mov_b32_e32 v3, v1
	s_and_saveexec_b64 s[6:7], s[10:11]
; %bb.259:
	v_lshlrev_b32_e32 v3, 2, v1
	ds_read_b32 v29, v3 offset:1028
	v_add_u32_e32 v3, 1, v1
; %bb.260:
	s_or_b64 exec, exec, s[6:7]
	v_cmp_lt_i32_e64 s[6:7], v27, v28
	s_or_b64 s[6:7], vcc, s[6:7]
	s_xor_b64 s[8:9], s[8:9], -1
	s_and_b64 s[6:7], s[8:9], s[6:7]
	s_xor_b64 s[8:9], s[6:7], -1
	v_mov_b32_e32 v30, v28
	v_mov_b32_e32 v4, v0
	s_and_saveexec_b64 s[6:7], s[8:9]
; %bb.261:
	v_lshlrev_b32_e32 v4, 2, v0
	ds_read_b32 v30, v4 offset:1028
	v_add_u32_e32 v4, 1, v0
; %bb.262:
	s_or_b64 exec, exec, s[6:7]
	v_cmp_ge_i32_e32 vcc, v4, v23
	v_cmp_ge_i32_sdwa s[10:11], v3, sext(v22) src0_sel:DWORD src1_sel:WORD_1
	s_waitcnt lgkmcnt(0)
	v_cmp_lt_i32_e64 s[6:7], v30, v29
	v_mov_b32_e32 v31, v29
	v_cndmask_b32_e64 v5, 0, 1, s[10:11]
	v_cndmask_b32_e64 v6, 0, 1, s[6:7]
	s_or_b64 s[6:7], s[10:11], vcc
	v_cndmask_b32_e64 v5, v6, v5, s[6:7]
	v_and_b32_e32 v5, 1, v5
	v_cmp_eq_u32_e64 s[6:7], 1, v5
	s_xor_b64 s[12:13], s[6:7], -1
	v_mov_b32_e32 v5, v3
	s_and_saveexec_b64 s[8:9], s[12:13]
; %bb.263:
	v_lshlrev_b32_e32 v5, 2, v3
	ds_read_b32 v31, v5 offset:1028
	v_add_u32_e32 v5, 1, v3
; %bb.264:
	s_or_b64 exec, exec, s[8:9]
	v_cmp_lt_i32_e64 s[8:9], v29, v30
	s_or_b64 s[8:9], vcc, s[8:9]
	s_xor_b64 s[10:11], s[10:11], -1
	s_and_b64 s[8:9], s[10:11], s[8:9]
	s_xor_b64 s[10:11], s[8:9], -1
	v_mov_b32_e32 v32, v30
	v_mov_b32_e32 v6, v4
	s_and_saveexec_b64 s[8:9], s[10:11]
; %bb.265:
	v_lshlrev_b32_e32 v6, 2, v4
	ds_read_b32 v32, v6 offset:1028
	v_add_u32_e32 v6, 1, v4
; %bb.266:
	s_or_b64 exec, exec, s[8:9]
	;; [unrolled: 34-line block ×8, first 2 shown]
	v_cmp_ge_i32_e32 vcc, v20, v23
	v_cmp_ge_i32_sdwa s[24:25], v19, sext(v22) src0_sel:DWORD src1_sel:WORD_1
	s_waitcnt lgkmcnt(0)
	v_cmp_lt_i32_e64 s[20:21], v44, v43
	v_cndmask_b32_e64 v21, 0, 1, s[24:25]
	s_nop 0
	v_cndmask_b32_e64 v45, 0, 1, s[20:21]
	s_or_b64 s[20:21], s[24:25], vcc
	v_cndmask_b32_e64 v21, v45, v21, s[20:21]
	v_and_b32_e32 v21, 1, v21
	v_cmp_eq_u32_e64 s[20:21], 1, v21
	s_xor_b64 s[26:27], s[20:21], -1
	v_mov_b32_e32 v45, v43
	v_mov_b32_e32 v21, v19
	s_and_saveexec_b64 s[22:23], s[26:27]
; %bb.291:
	v_lshlrev_b32_e32 v21, 2, v19
	ds_read_b32 v45, v21 offset:1028
	v_add_u32_e32 v21, 1, v19
; %bb.292:
	s_or_b64 exec, exec, s[22:23]
	v_cmp_lt_i32_e64 s[22:23], v43, v44
	s_or_b64 s[22:23], vcc, s[22:23]
	s_xor_b64 s[24:25], s[24:25], -1
	s_and_b64 s[22:23], s[24:25], s[22:23]
	s_xor_b64 s[24:25], s[22:23], -1
	v_mov_b32_e32 v46, v44
	v_mov_b32_e32 v59, v20
	s_and_saveexec_b64 s[22:23], s[24:25]
; %bb.293:
	v_lshlrev_b32_e32 v46, 2, v20
	ds_read_b32 v46, v46 offset:1028
	v_add_u32_e32 v59, 1, v20
; %bb.294:
	s_or_b64 exec, exec, s[22:23]
	v_cmp_ge_i32_e32 vcc, v59, v23
	v_cmp_ge_i32_sdwa s[26:27], v21, sext(v22) src0_sel:DWORD src1_sel:WORD_1
	s_waitcnt lgkmcnt(0)
	v_cmp_lt_i32_e64 s[22:23], v46, v45
	v_mov_b32_e32 v60, v21
	v_cndmask_b32_e64 v47, 0, 1, s[26:27]
	v_cndmask_b32_e64 v48, 0, 1, s[22:23]
	s_or_b64 s[22:23], s[26:27], vcc
	v_cndmask_b32_e64 v47, v48, v47, s[22:23]
	v_and_b32_e32 v47, 1, v47
	v_cmp_eq_u32_e64 s[22:23], 1, v47
	s_xor_b64 s[28:29], s[22:23], -1
	v_mov_b32_e32 v47, v45
	s_and_saveexec_b64 s[24:25], s[28:29]
; %bb.295:
	v_lshlrev_b32_e32 v47, 2, v21
	ds_read_b32 v47, v47 offset:1028
	v_add_u32_e32 v60, 1, v21
; %bb.296:
	s_or_b64 exec, exec, s[24:25]
	v_cmp_lt_i32_e64 s[24:25], v45, v46
	s_or_b64 s[24:25], vcc, s[24:25]
	s_xor_b64 s[26:27], s[26:27], -1
	s_and_b64 s[24:25], s[26:27], s[24:25]
	s_xor_b64 s[26:27], s[24:25], -1
	v_mov_b32_e32 v48, v46
	v_mov_b32_e32 v61, v59
	s_and_saveexec_b64 s[24:25], s[26:27]
; %bb.297:
	v_lshlrev_b32_e32 v48, 2, v59
	ds_read_b32 v48, v48 offset:1028
	v_add_u32_e32 v61, 1, v59
; %bb.298:
	s_or_b64 exec, exec, s[24:25]
	v_cmp_ge_i32_e32 vcc, v61, v23
	v_cmp_ge_i32_sdwa s[28:29], v60, sext(v22) src0_sel:DWORD src1_sel:WORD_1
	s_waitcnt lgkmcnt(0)
	v_cmp_lt_i32_e64 s[24:25], v48, v47
	v_mov_b32_e32 v62, v60
	v_cndmask_b32_e64 v49, 0, 1, s[28:29]
	v_cndmask_b32_e64 v50, 0, 1, s[24:25]
	s_or_b64 s[24:25], s[28:29], vcc
	v_cndmask_b32_e64 v49, v50, v49, s[24:25]
	v_and_b32_e32 v49, 1, v49
	v_cmp_eq_u32_e64 s[24:25], 1, v49
	s_xor_b64 s[30:31], s[24:25], -1
	;; [unrolled: 34-line block ×4, first 2 shown]
	v_mov_b32_e32 v53, v51
	s_and_saveexec_b64 s[30:31], s[36:37]
; %bb.307:
	v_lshlrev_b32_e32 v53, 2, v64
	ds_read_b32 v53, v53 offset:1028
	v_add_u32_e32 v66, 1, v64
; %bb.308:
	s_or_b64 exec, exec, s[30:31]
	v_cmp_lt_i32_e64 s[30:31], v51, v52
	s_or_b64 s[30:31], vcc, s[30:31]
	s_xor_b64 s[34:35], s[34:35], -1
	s_and_b64 s[30:31], s[34:35], s[30:31]
	s_xor_b64 s[34:35], s[30:31], -1
	v_mov_b32_e32 v54, v52
	v_mov_b32_e32 v67, v65
	s_and_saveexec_b64 s[30:31], s[34:35]
; %bb.309:
	v_lshlrev_b32_e32 v54, 2, v65
	ds_read_b32 v54, v54 offset:1028
	v_add_u32_e32 v67, 1, v65
; %bb.310:
	s_or_b64 exec, exec, s[30:31]
	v_cmp_ge_i32_e32 vcc, v67, v23
	v_cmp_ge_i32_sdwa s[36:37], v66, sext(v22) src0_sel:DWORD src1_sel:WORD_1
	s_waitcnt lgkmcnt(0)
	v_cmp_lt_i32_e64 s[30:31], v54, v53
	v_cndmask_b32_e64 v55, 0, 1, s[36:37]
	s_nop 0
	v_cndmask_b32_e64 v56, 0, 1, s[30:31]
	s_or_b64 s[30:31], s[36:37], vcc
	v_cndmask_b32_e64 v55, v56, v55, s[30:31]
	v_and_b32_e32 v55, 1, v55
	v_cmp_eq_u32_e64 s[30:31], 1, v55
	s_xor_b64 s[38:39], s[30:31], -1
	v_mov_b32_e32 v55, v53
	v_mov_b32_e32 v56, v66
	s_and_saveexec_b64 s[34:35], s[38:39]
; %bb.311:
	v_lshlrev_b32_e32 v55, 2, v66
	ds_read_b32 v55, v55 offset:1028
	v_add_u32_e32 v56, 1, v66
; %bb.312:
	s_or_b64 exec, exec, s[34:35]
	v_cmp_lt_i32_e64 s[34:35], v53, v54
	s_or_b64 s[34:35], vcc, s[34:35]
	s_xor_b64 s[36:37], s[36:37], -1
	s_and_b64 s[34:35], s[36:37], s[34:35]
	s_xor_b64 s[36:37], s[34:35], -1
	v_mov_b32_e32 v57, v54
	v_mov_b32_e32 v58, v67
	s_and_saveexec_b64 s[34:35], s[36:37]
; %bb.313:
	v_lshlrev_b32_e32 v57, 2, v67
	ds_read_b32 v57, v57 offset:1028
	v_add_u32_e32 v58, 1, v67
; %bb.314:
	s_or_b64 exec, exec, s[34:35]
	v_add_u32_e32 v68, v58, v56
	v_add_u32_sdwa v69, v23, sext(v22) dst_sel:DWORD dst_unused:UNUSED_PAD src0_sel:DWORD src1_sel:WORD_1
	v_mov_b32_e32 v70, 0x8000
	v_cmp_lt_i32_e32 vcc, v68, v69
	v_add_u32_e32 v66, v67, v66
	v_mov_b32_e32 v67, 0x4000
	v_cndmask_b32_e32 v68, 0, v70, vcc
	v_cmp_lt_i32_e32 vcc, v66, v69
	v_add_u32_e32 v64, v65, v64
	v_mov_b32_e32 v65, 0x2000
	v_cndmask_b32_e32 v66, 0, v67, vcc
	;; [unrolled: 4-line block ×6, first 2 shown]
	v_cmp_lt_i32_e32 vcc, v19, v69
	v_add_u32_e32 v15, v18, v15
	v_add_u32_e32 v3, v4, v3
	;; [unrolled: 1-line block ×4, first 2 shown]
	v_cndmask_b32_e32 v19, 0, v20, vcc
	v_mov_b32_e32 v18, 0x100
	v_cmp_lt_i32_e32 vcc, v15, v69
	v_add_u32_e32 v13, v14, v13
	v_add_u32_e32 v7, v8, v7
	v_add_u32_e32 v5, v6, v5
	v_cmp_lt_i32_e64 s[40:41], v3, v69
	v_cmp_lt_i32_e64 s[42:43], v0, v69
	;; [unrolled: 1-line block ×3, first 2 shown]
	v_cndmask_b32_e32 v15, 0, v18, vcc
	v_mov_b32_e32 v14, 0x80
	v_cmp_lt_i32_e32 vcc, v13, v69
	v_add_u32_e32 v11, v12, v11
	v_add_u32_e32 v9, v10, v9
	v_cmp_lt_i32_e64 s[36:37], v7, v69
	v_cmp_lt_i32_e64 s[38:39], v5, v69
	v_cndmask_b32_e64 v3, 0, 4, s[40:41]
	v_cndmask_b32_e64 v0, 0, 2, s[42:43]
	;; [unrolled: 1-line block ×3, first 2 shown]
	v_cndmask_b32_e32 v13, 0, v14, vcc
	v_cmp_lt_i32_e32 vcc, v11, v69
	v_cmp_lt_i32_e64 s[34:35], v9, v69
	v_cndmask_b32_e64 v7, 0, 16, s[36:37]
	v_cndmask_b32_e64 v5, 0, 8, s[38:39]
	v_or3_b32 v0, v0, v1, v3
	v_cndmask_b32_e64 v11, 0, 64, vcc
	v_cndmask_b32_e64 v9, 0, 32, s[34:35]
	v_or3_b32 v0, v0, v5, v7
	v_or3_b32 v63, v0, v9, v11
	v_or_b32_e32 v62, v13, v63
	v_or3_b32 v61, v15, v19, v62
	v_or3_b32 v60, v21, v60, v61
	;; [unrolled: 1-line block ×4, first 2 shown]
	v_bcnt_u32_b32 v8, v26, 0
	v_mov_b32_e32 v9, 0
	s_cmp_lg_u32 s58, 0
	v_mbcnt_lo_u32_b32 v64, -1, 0
	s_waitcnt lgkmcnt(0)
	s_barrier
	s_cbranch_scc0 .LBB21_342
; %bb.315:
	v_mbcnt_hi_u32_b32 v20, -1, v64
	v_mov_b32_dpp v0, v8 row_shr:1 row_mask:0xf bank_mask:0xf
	v_mov_b32_e32 v1, v9
	v_and_b32_e32 v4, 15, v20
	v_mov_b32_dpp v3, v9 row_shr:1 row_mask:0xf bank_mask:0xf
	v_mov_b32_e32 v2, v9
	v_lshl_add_u64 v[0:1], v[0:1], 0, v[8:9]
	v_lshl_add_u64 v[2:3], v[2:3], 0, v[0:1]
	v_cmp_eq_u32_e32 vcc, 0, v4
	v_and_b32_e32 v7, 16, v20
	v_cmp_eq_u32_e64 s[46:47], 0, v20
	v_cndmask_b32_e64 v1, v3, 0, vcc
	v_cndmask_b32_e32 v5, v0, v8, vcc
	v_cndmask_b32_e32 v0, v2, v8, vcc
	v_mov_b32_dpp v3, v1 row_shr:2 row_mask:0xf bank_mask:0xf
	v_mov_b32_dpp v2, v5 row_shr:2 row_mask:0xf bank_mask:0xf
	v_lshl_add_u64 v[2:3], v[2:3], 0, v[0:1]
	v_cmp_lt_u32_e32 vcc, 1, v4
	v_cmp_ne_u32_e64 s[48:49], 0, v20
	s_nop 0
	v_cndmask_b32_e32 v1, v1, v3, vcc
	v_cndmask_b32_e32 v5, v5, v2, vcc
	;; [unrolled: 1-line block ×3, first 2 shown]
	v_mov_b32_dpp v3, v1 row_shr:4 row_mask:0xf bank_mask:0xf
	v_mov_b32_dpp v2, v5 row_shr:4 row_mask:0xf bank_mask:0xf
	v_lshl_add_u64 v[2:3], v[2:3], 0, v[0:1]
	v_cmp_lt_u32_e32 vcc, 3, v4
	s_nop 1
	v_cndmask_b32_e32 v1, v1, v3, vcc
	v_cndmask_b32_e32 v5, v5, v2, vcc
	;; [unrolled: 1-line block ×3, first 2 shown]
	v_mov_b32_dpp v3, v1 row_shr:8 row_mask:0xf bank_mask:0xf
	v_mov_b32_dpp v2, v5 row_shr:8 row_mask:0xf bank_mask:0xf
	v_lshl_add_u64 v[2:3], v[2:3], 0, v[0:1]
	v_cmp_lt_u32_e32 vcc, 7, v4
	s_nop 1
	v_cndmask_b32_e32 v3, v1, v3, vcc
	v_cndmask_b32_e32 v6, v5, v2, vcc
	;; [unrolled: 1-line block ×3, first 2 shown]
	v_mov_b32_dpp v1, v3 row_bcast:15 row_mask:0xf bank_mask:0xf
	v_mov_b32_dpp v0, v6 row_bcast:15 row_mask:0xf bank_mask:0xf
	v_lshl_add_u64 v[4:5], v[0:1], 0, v[2:3]
	v_cmp_eq_u32_e32 vcc, 0, v7
	s_nop 1
	v_cndmask_b32_e32 v0, v5, v3, vcc
	v_cndmask_b32_e32 v1, v4, v6, vcc
	s_nop 0
	v_mov_b32_dpp v7, v0 row_bcast:31 row_mask:0xf bank_mask:0xf
	v_mov_b32_dpp v6, v1 row_bcast:31 row_mask:0xf bank_mask:0xf
	v_mov_b64_e32 v[0:1], v[8:9]
	s_and_saveexec_b64 s[50:51], s[48:49]
; %bb.316:
	v_cndmask_b32_e32 v1, v5, v3, vcc
	v_cndmask_b32_e32 v0, v4, v2, vcc
	v_cmp_lt_u32_e32 vcc, 31, v20
	s_nop 1
	v_cndmask_b32_e32 v3, 0, v7, vcc
	v_cndmask_b32_e32 v2, 0, v6, vcc
	v_lshl_add_u64 v[0:1], v[2:3], 0, v[0:1]
; %bb.317:
	s_or_b64 exec, exec, s[50:51]
	v_and_b32_e32 v3, 0x3c0, v16
	v_min_u32_e32 v3, 0xc0, v3
	v_or_b32_e32 v3, 63, v3
	v_lshrrev_b32_e32 v2, 6, v16
	v_cmp_eq_u32_e32 vcc, v16, v3
	s_and_saveexec_b64 s[48:49], vcc
; %bb.318:
	v_lshlrev_b32_e32 v3, 3, v2
	ds_write_b64 v3, v[0:1]
; %bb.319:
	s_or_b64 exec, exec, s[48:49]
	v_cmp_gt_u32_e32 vcc, 4, v16
	s_waitcnt lgkmcnt(0)
	s_barrier
	s_and_saveexec_b64 s[50:51], vcc
	s_cbranch_execz .LBB21_321
; %bb.320:
	v_lshlrev_b32_e32 v3, 3, v16
	ds_read_b64 v[4:5], v3
	v_mov_b32_e32 v6, 0
	v_mov_b32_e32 v11, v6
	v_and_b32_e32 v12, 3, v20
	v_cmp_eq_u32_e32 vcc, 0, v12
	s_waitcnt lgkmcnt(0)
	v_mov_b32_dpp v10, v4 row_shr:1 row_mask:0xf bank_mask:0xf
	v_mov_b32_dpp v7, v5 row_shr:1 row_mask:0xf bank_mask:0xf
	v_lshl_add_u64 v[10:11], v[4:5], 0, v[10:11]
	v_lshl_add_u64 v[6:7], v[6:7], 0, v[10:11]
	v_cndmask_b32_e32 v11, v7, v5, vcc
	v_cndmask_b32_e32 v10, v10, v4, vcc
	v_cmp_ne_u32_e64 s[48:49], 1, v12
	v_mov_b32_dpp v11, v11 row_shr:2 row_mask:0xf bank_mask:0xf
	v_mov_b32_dpp v10, v10 row_shr:2 row_mask:0xf bank_mask:0xf
	v_cndmask_b32_e64 v10, 0, v10, s[48:49]
	v_cndmask_b32_e64 v11, 0, v11, s[48:49]
	v_lshl_add_u64 v[6:7], v[10:11], 0, v[6:7]
	v_cndmask_b32_e32 v5, v7, v5, vcc
	v_cndmask_b32_e32 v4, v6, v4, vcc
	ds_write_b64 v3, v[4:5]
.LBB21_321:
	s_or_b64 exec, exec, s[50:51]
	v_cmp_gt_u32_e32 vcc, 64, v16
	v_cmp_lt_u32_e64 s[48:49], 63, v16
	s_waitcnt lgkmcnt(0)
	s_barrier
                                        ; implicit-def: $vgpr10_vgpr11
	s_and_saveexec_b64 s[50:51], s[48:49]
	s_cbranch_execz .LBB21_323
; %bb.322:
	v_lshl_add_u32 v2, v2, 3, -8
	ds_read_b64 v[10:11], v2
	s_waitcnt lgkmcnt(0)
	v_lshl_add_u64 v[0:1], v[10:11], 0, v[0:1]
.LBB21_323:
	s_or_b64 exec, exec, s[50:51]
	v_add_u32_e32 v1, -1, v20
	v_and_b32_e32 v2, 64, v20
	v_cmp_lt_i32_e64 s[48:49], v1, v2
	s_nop 1
	v_cndmask_b32_e64 v1, v1, v20, s[48:49]
	v_lshlrev_b32_e32 v1, 2, v1
	ds_bpermute_b32 v65, v1, v0
	s_and_saveexec_b64 s[54:55], vcc
	s_cbranch_execz .LBB21_347
; %bb.324:
	v_mov_b32_e32 v3, 0
	ds_read_b64 v[0:1], v3 offset:24
	s_and_saveexec_b64 s[48:49], s[46:47]
	s_cbranch_execz .LBB21_326
; %bb.325:
	s_add_i32 s50, s58, 64
	s_mov_b32 s51, 0
	s_lshl_b64 s[50:51], s[50:51], 4
	s_add_u32 s50, s56, s50
	s_addc_u32 s51, s57, s51
	v_mov_b32_e32 v2, 1
	v_mov_b64_e32 v[4:5], s[50:51]
	s_waitcnt lgkmcnt(0)
	;;#ASMSTART
	global_store_dwordx4 v[4:5], v[0:3] off sc1	
s_waitcnt vmcnt(0)
	;;#ASMEND
.LBB21_326:
	s_or_b64 exec, exec, s[48:49]
	v_xad_u32 v12, v20, -1, s58
	v_add_u32_e32 v2, 64, v12
	v_lshl_add_u64 v[14:15], v[2:3], 4, s[56:57]
	;;#ASMSTART
	global_load_dwordx4 v[4:7], v[14:15] off sc1	
s_waitcnt vmcnt(0)
	;;#ASMEND
	s_nop 0
	v_cmp_eq_u16_sdwa s[50:51], v6, v3 src0_sel:BYTE_0 src1_sel:DWORD
	s_and_saveexec_b64 s[48:49], s[50:51]
	s_cbranch_execz .LBB21_330
; %bb.327:
	s_mov_b64 s[50:51], 0
	v_mov_b32_e32 v2, 0
.LBB21_328:                             ; =>This Inner Loop Header: Depth=1
	;;#ASMSTART
	global_load_dwordx4 v[4:7], v[14:15] off sc1	
s_waitcnt vmcnt(0)
	;;#ASMEND
	s_nop 0
	v_cmp_ne_u16_sdwa s[60:61], v6, v2 src0_sel:BYTE_0 src1_sel:DWORD
	s_or_b64 s[50:51], s[60:61], s[50:51]
	s_andn2_b64 exec, exec, s[50:51]
	s_cbranch_execnz .LBB21_328
; %bb.329:
	s_or_b64 exec, exec, s[50:51]
.LBB21_330:
	s_or_b64 exec, exec, s[48:49]
	v_mov_b32_e32 v66, 2
	v_cmp_eq_u16_sdwa s[48:49], v6, v66 src0_sel:BYTE_0 src1_sel:DWORD
	v_lshlrev_b64 v[14:15], v20, -1
	v_and_b32_e32 v67, 63, v20
	v_and_b32_e32 v2, s49, v15
	v_or_b32_e32 v2, 0x80000000, v2
	v_and_b32_e32 v3, s48, v14
	v_ffbl_b32_e32 v2, v2
	v_add_u32_e32 v2, 32, v2
	v_ffbl_b32_e32 v3, v3
	v_cmp_ne_u32_e32 vcc, 63, v67
	v_min_u32_e32 v7, v3, v2
	v_mov_b32_e32 v13, 0
	v_addc_co_u32_e32 v2, vcc, 0, v20, vcc
	v_lshlrev_b32_e32 v68, 2, v2
	ds_bpermute_b32 v2, v68, v4
	ds_bpermute_b32 v19, v68, v5
	v_mov_b32_e32 v3, v13
	v_mov_b32_e32 v18, v13
	v_cmp_lt_u32_e64 s[48:49], v67, v7
	s_waitcnt lgkmcnt(1)
	v_lshl_add_u64 v[2:3], v[4:5], 0, v[2:3]
	v_cmp_gt_u32_e32 vcc, 62, v67
	s_waitcnt lgkmcnt(0)
	v_lshl_add_u64 v[18:19], v[18:19], 0, v[2:3]
	v_cndmask_b32_e64 v21, v4, v2, s[48:49]
	v_cndmask_b32_e64 v2, 0, 2, vcc
	v_cndmask_b32_e64 v3, v5, v19, s[48:49]
	v_add_lshl_u32 v69, v2, v20, 2
	ds_bpermute_b32 v72, v69, v21
	ds_bpermute_b32 v73, v69, v3
	v_cndmask_b32_e64 v2, v4, v18, s[48:49]
	v_add_u32_e32 v70, 2, v67
	v_cmp_gt_u32_e32 vcc, v70, v7
	v_cmp_gt_u32_e64 s[50:51], 60, v67
	s_waitcnt lgkmcnt(0)
	v_lshl_add_u64 v[18:19], v[72:73], 0, v[2:3]
	v_cndmask_b32_e32 v3, v19, v3, vcc
	v_cndmask_b32_e64 v19, 0, 4, s[50:51]
	v_cndmask_b32_e32 v21, v18, v21, vcc
	v_add_lshl_u32 v71, v19, v20, 2
	ds_bpermute_b32 v74, v71, v21
	ds_bpermute_b32 v75, v71, v3
	v_cndmask_b32_e32 v2, v18, v2, vcc
	v_add_u32_e32 v72, 4, v67
	v_cmp_gt_u32_e32 vcc, v72, v7
	v_cmp_gt_u32_e64 s[50:51], 56, v67
	s_waitcnt lgkmcnt(0)
	v_lshl_add_u64 v[18:19], v[74:75], 0, v[2:3]
	v_cndmask_b32_e32 v3, v19, v3, vcc
	v_cndmask_b32_e64 v19, 0, 8, s[50:51]
	v_cndmask_b32_e32 v21, v18, v21, vcc
	v_add_lshl_u32 v73, v19, v20, 2
	ds_bpermute_b32 v76, v73, v21
	ds_bpermute_b32 v77, v73, v3
	v_cndmask_b32_e32 v2, v18, v2, vcc
	;; [unrolled: 12-line block ×3, first 2 shown]
	v_add_u32_e32 v76, 16, v67
	v_cmp_gt_u32_e32 vcc, v76, v7
	v_mov_b32_e32 v77, 0x80
	s_waitcnt lgkmcnt(0)
	v_lshl_add_u64 v[18:19], v[78:79], 0, v[2:3]
	v_cndmask_b32_e32 v78, v19, v3, vcc
	v_cndmask_b32_e32 v21, v18, v21, vcc
	v_lshl_or_b32 v77, v20, 2, v77
	ds_bpermute_b32 v20, v77, v21
	ds_bpermute_b32 v21, v77, v78
	v_add_u32_e32 v78, 32, v67
	s_and_saveexec_b64 s[50:51], s[48:49]
	s_cbranch_execz .LBB21_332
; %bb.331:
	v_cndmask_b32_e32 v3, v19, v3, vcc
	v_cndmask_b32_e32 v2, v18, v2, vcc
	v_cmp_le_u32_e32 vcc, v78, v7
	s_waitcnt lgkmcnt(0)
	s_nop 0
	v_cndmask_b32_e32 v5, 0, v21, vcc
	v_cndmask_b32_e32 v4, 0, v20, vcc
	v_lshl_add_u64 v[4:5], v[4:5], 0, v[2:3]
.LBB21_332:
	s_or_b64 exec, exec, s[50:51]
	s_branch .LBB21_335
.LBB21_333:                             ;   in Loop: Header=BB21_335 Depth=1
	s_or_b64 exec, exec, s[50:51]
	v_subrev_u32_e32 v12, 64, v12
	v_lshl_add_u64 v[4:5], v[4:5], 0, v[2:3]
	s_mov_b64 s[48:49], 0
.LBB21_334:                             ;   in Loop: Header=BB21_335 Depth=1
	s_and_b64 vcc, exec, s[48:49]
	s_cbranch_vccnz .LBB21_343
.LBB21_335:                             ; =>This Loop Header: Depth=1
                                        ;     Child Loop BB21_338 Depth 2
	v_cmp_ne_u16_sdwa s[48:49], v6, v66 src0_sel:BYTE_0 src1_sel:DWORD
	v_mov_b64_e32 v[2:3], v[4:5]
	s_cmp_lg_u64 s[48:49], exec
	s_mov_b64 s[48:49], -1
                                        ; implicit-def: $vgpr4_vgpr5
	s_cbranch_scc1 .LBB21_334
; %bb.336:                              ;   in Loop: Header=BB21_335 Depth=1
	v_lshl_add_u64 v[18:19], v[12:13], 4, s[56:57]
	;;#ASMSTART
	global_load_dwordx4 v[4:7], v[18:19] off sc1	
s_waitcnt vmcnt(0)
	;;#ASMEND
	s_nop 0
	v_cmp_eq_u16_sdwa s[50:51], v6, v13 src0_sel:BYTE_0 src1_sel:DWORD
	s_and_saveexec_b64 s[48:49], s[50:51]
	s_cbranch_execz .LBB21_340
; %bb.337:                              ;   in Loop: Header=BB21_335 Depth=1
	s_mov_b64 s[50:51], 0
.LBB21_338:                             ;   Parent Loop BB21_335 Depth=1
                                        ; =>  This Inner Loop Header: Depth=2
	;;#ASMSTART
	global_load_dwordx4 v[4:7], v[18:19] off sc1	
s_waitcnt vmcnt(0)
	;;#ASMEND
	s_nop 0
	v_cmp_ne_u16_sdwa s[60:61], v6, v13 src0_sel:BYTE_0 src1_sel:DWORD
	s_or_b64 s[50:51], s[60:61], s[50:51]
	s_andn2_b64 exec, exec, s[50:51]
	s_cbranch_execnz .LBB21_338
; %bb.339:                              ;   in Loop: Header=BB21_335 Depth=1
	s_or_b64 exec, exec, s[50:51]
.LBB21_340:                             ;   in Loop: Header=BB21_335 Depth=1
	s_or_b64 exec, exec, s[48:49]
	v_cmp_eq_u16_sdwa s[48:49], v6, v66 src0_sel:BYTE_0 src1_sel:DWORD
	s_waitcnt lgkmcnt(0)
	ds_bpermute_b32 v21, v68, v5
	v_mov_b32_e32 v20, v13
	v_and_b32_e32 v18, s48, v14
	v_and_b32_e32 v7, s49, v15
	v_ffbl_b32_e32 v19, v18
	ds_bpermute_b32 v18, v68, v4
	v_or_b32_e32 v7, 0x80000000, v7
	v_ffbl_b32_e32 v7, v7
	v_add_u32_e32 v7, 32, v7
	v_min_u32_e32 v7, v19, v7
	v_mov_b32_e32 v19, v13
	s_waitcnt lgkmcnt(0)
	v_lshl_add_u64 v[18:19], v[4:5], 0, v[18:19]
	v_lshl_add_u64 v[20:21], v[20:21], 0, v[18:19]
	v_cmp_lt_u32_e64 s[48:49], v67, v7
	v_cmp_gt_u32_e32 vcc, v70, v7
	s_nop 0
	v_cndmask_b32_e64 v79, v4, v18, s[48:49]
	v_cndmask_b32_e64 v19, v5, v21, s[48:49]
	ds_bpermute_b32 v80, v69, v79
	ds_bpermute_b32 v81, v69, v19
	v_cndmask_b32_e64 v18, v4, v20, s[48:49]
	s_waitcnt lgkmcnt(0)
	v_lshl_add_u64 v[20:21], v[80:81], 0, v[18:19]
	v_cndmask_b32_e32 v79, v20, v79, vcc
	v_cndmask_b32_e32 v19, v21, v19, vcc
	ds_bpermute_b32 v80, v71, v79
	ds_bpermute_b32 v81, v71, v19
	v_cndmask_b32_e32 v18, v20, v18, vcc
	v_cmp_gt_u32_e32 vcc, v72, v7
	s_waitcnt lgkmcnt(0)
	v_lshl_add_u64 v[20:21], v[80:81], 0, v[18:19]
	v_cndmask_b32_e32 v79, v20, v79, vcc
	v_cndmask_b32_e32 v19, v21, v19, vcc
	ds_bpermute_b32 v80, v73, v79
	ds_bpermute_b32 v81, v73, v19
	v_cndmask_b32_e32 v18, v20, v18, vcc
	v_cmp_gt_u32_e32 vcc, v74, v7
	;; [unrolled: 8-line block ×3, first 2 shown]
	s_waitcnt lgkmcnt(0)
	v_lshl_add_u64 v[20:21], v[80:81], 0, v[18:19]
	v_cndmask_b32_e32 v80, v21, v19, vcc
	v_cndmask_b32_e32 v79, v20, v79, vcc
	ds_bpermute_b32 v79, v77, v79
	ds_bpermute_b32 v80, v77, v80
	s_and_saveexec_b64 s[50:51], s[48:49]
	s_cbranch_execz .LBB21_333
; %bb.341:                              ;   in Loop: Header=BB21_335 Depth=1
	v_cndmask_b32_e32 v5, v21, v19, vcc
	v_cndmask_b32_e32 v4, v20, v18, vcc
	v_cmp_le_u32_e32 vcc, v78, v7
	s_waitcnt lgkmcnt(0)
	s_nop 0
	v_cndmask_b32_e32 v19, 0, v80, vcc
	v_cndmask_b32_e32 v18, 0, v79, vcc
	v_lshl_add_u64 v[4:5], v[18:19], 0, v[4:5]
	s_branch .LBB21_333
.LBB21_342:
                                        ; implicit-def: $vgpr2_vgpr3
                                        ; implicit-def: $vgpr4_vgpr5
	s_cbranch_execnz .LBB21_348
	s_branch .LBB21_359
.LBB21_343:
	s_and_saveexec_b64 s[48:49], s[46:47]
	s_cbranch_execz .LBB21_345
; %bb.344:
	s_add_i32 s50, s58, 64
	s_mov_b32 s51, 0
	s_lshl_b64 s[50:51], s[50:51], 4
	s_add_u32 s50, s56, s50
	s_addc_u32 s51, s57, s51
	v_lshl_add_u64 v[4:5], v[2:3], 0, v[0:1]
	v_mov_b32_e32 v6, 2
	v_mov_b32_e32 v7, 0
	v_mov_b64_e32 v[12:13], s[50:51]
	;;#ASMSTART
	global_store_dwordx4 v[12:13], v[4:7] off sc1	
s_waitcnt vmcnt(0)
	;;#ASMEND
	ds_write_b128 v7, v[0:3] offset:32
.LBB21_345:
	s_or_b64 exec, exec, s[48:49]
	s_and_b64 exec, exec, s[2:3]
; %bb.346:
	v_mov_b32_e32 v0, 0
	ds_write_b64 v0, v[2:3] offset:24
.LBB21_347:
	s_or_b64 exec, exec, s[54:55]
	v_mov_b32_e32 v0, 0
	s_waitcnt lgkmcnt(0)
	s_barrier
	ds_read_b64 v[4:5], v0 offset:24
	s_waitcnt lgkmcnt(0)
	s_barrier
	ds_read_b128 v[0:3], v0 offset:32
	v_cndmask_b32_e64 v6, v65, v10, s[46:47]
	v_cndmask_b32_e64 v7, 0, v11, s[46:47]
	;; [unrolled: 1-line block ×4, first 2 shown]
	v_lshl_add_u64 v[4:5], v[4:5], 0, v[6:7]
	s_branch .LBB21_359
.LBB21_348:
	s_waitcnt lgkmcnt(0)
	v_mov_b32_e32 v0, 0
	v_mbcnt_hi_u32_b32 v4, -1, v64
	v_mov_b32_dpp v2, v8 row_shr:1 row_mask:0xf bank_mask:0xf
	v_mov_b32_e32 v3, v0
	v_and_b32_e32 v5, 15, v4
	v_mov_b32_dpp v1, v0 row_shr:1 row_mask:0xf bank_mask:0xf
	v_lshl_add_u64 v[2:3], v[2:3], 0, v[8:9]
	v_lshl_add_u64 v[0:1], v[0:1], 0, v[2:3]
	v_cmp_eq_u32_e32 vcc, 0, v5
	v_cmp_ne_u32_e64 s[48:49], 0, v4
	s_nop 0
	v_cndmask_b32_e64 v1, v1, 0, vcc
	v_cndmask_b32_e32 v6, v2, v8, vcc
	v_cndmask_b32_e32 v0, v0, v8, vcc
	v_mov_b32_dpp v3, v1 row_shr:2 row_mask:0xf bank_mask:0xf
	v_mov_b32_dpp v2, v6 row_shr:2 row_mask:0xf bank_mask:0xf
	v_lshl_add_u64 v[2:3], v[2:3], 0, v[0:1]
	v_cmp_lt_u32_e32 vcc, 1, v5
	s_nop 1
	v_cndmask_b32_e32 v1, v1, v3, vcc
	v_cndmask_b32_e32 v6, v6, v2, vcc
	v_cndmask_b32_e32 v0, v0, v2, vcc
	v_mov_b32_dpp v3, v1 row_shr:4 row_mask:0xf bank_mask:0xf
	v_mov_b32_dpp v2, v6 row_shr:4 row_mask:0xf bank_mask:0xf
	v_lshl_add_u64 v[2:3], v[2:3], 0, v[0:1]
	v_cmp_lt_u32_e32 vcc, 3, v5
	s_nop 1
	v_cndmask_b32_e32 v1, v1, v3, vcc
	;; [unrolled: 8-line block ×3, first 2 shown]
	v_cndmask_b32_e32 v5, v6, v2, vcc
	v_cndmask_b32_e32 v0, v0, v2, vcc
	v_mov_b32_dpp v3, v1 row_bcast:15 row_mask:0xf bank_mask:0xf
	v_mov_b32_dpp v2, v5 row_bcast:15 row_mask:0xf bank_mask:0xf
	v_and_b32_e32 v6, 16, v4
	v_lshl_add_u64 v[2:3], v[2:3], 0, v[0:1]
	v_cmp_eq_u32_e64 s[46:47], 0, v6
	v_cmp_eq_u32_e32 vcc, 0, v4
	s_nop 0
	v_cndmask_b32_e64 v6, v3, v1, s[46:47]
	v_cndmask_b32_e64 v5, v2, v5, s[46:47]
	s_nop 0
	v_mov_b32_dpp v6, v6 row_bcast:31 row_mask:0xf bank_mask:0xf
	v_mov_b32_dpp v5, v5 row_bcast:31 row_mask:0xf bank_mask:0xf
	s_and_saveexec_b64 s[50:51], s[48:49]
; %bb.349:
	v_cndmask_b32_e64 v1, v3, v1, s[46:47]
	v_cndmask_b32_e64 v0, v2, v0, s[46:47]
	v_cmp_lt_u32_e64 s[46:47], 31, v4
	s_nop 1
	v_cndmask_b32_e64 v3, 0, v6, s[46:47]
	v_cndmask_b32_e64 v2, 0, v5, s[46:47]
	v_lshl_add_u64 v[8:9], v[2:3], 0, v[0:1]
; %bb.350:
	s_or_b64 exec, exec, s[50:51]
	v_and_b32_e32 v1, 0x3c0, v16
	v_min_u32_e32 v1, 0xc0, v1
	v_or_b32_e32 v1, 63, v1
	v_lshrrev_b32_e32 v0, 6, v16
	v_cmp_eq_u32_e64 s[46:47], v16, v1
	s_and_saveexec_b64 s[48:49], s[46:47]
; %bb.351:
	v_lshlrev_b32_e32 v1, 3, v0
	ds_write_b64 v1, v[8:9]
; %bb.352:
	s_or_b64 exec, exec, s[48:49]
	v_cmp_gt_u32_e64 s[46:47], 4, v16
	s_waitcnt lgkmcnt(0)
	s_barrier
	s_and_saveexec_b64 s[50:51], s[46:47]
	s_cbranch_execz .LBB21_354
; %bb.353:
	v_lshlrev_b32_e32 v1, 3, v16
	ds_read_b64 v[2:3], v1
	v_mov_b32_e32 v6, 0
	v_mov_b32_e32 v11, v6
	v_and_b32_e32 v5, 3, v4
	v_cmp_eq_u32_e64 s[46:47], 0, v5
	s_waitcnt lgkmcnt(0)
	v_mov_b32_dpp v10, v2 row_shr:1 row_mask:0xf bank_mask:0xf
	v_mov_b32_dpp v7, v3 row_shr:1 row_mask:0xf bank_mask:0xf
	v_lshl_add_u64 v[10:11], v[2:3], 0, v[10:11]
	v_lshl_add_u64 v[6:7], v[6:7], 0, v[10:11]
	v_cndmask_b32_e64 v9, v7, v3, s[46:47]
	v_cndmask_b32_e64 v10, v10, v2, s[46:47]
	v_cmp_ne_u32_e64 s[48:49], 1, v5
	v_mov_b32_dpp v9, v9 row_shr:2 row_mask:0xf bank_mask:0xf
	v_mov_b32_dpp v10, v10 row_shr:2 row_mask:0xf bank_mask:0xf
	v_cndmask_b32_e64 v10, 0, v10, s[48:49]
	v_cndmask_b32_e64 v11, 0, v9, s[48:49]
	v_lshl_add_u64 v[6:7], v[10:11], 0, v[6:7]
	v_cndmask_b32_e64 v3, v7, v3, s[46:47]
	v_cndmask_b32_e64 v2, v6, v2, s[46:47]
	ds_write_b64 v1, v[2:3]
.LBB21_354:
	s_or_b64 exec, exec, s[50:51]
	v_cmp_lt_u32_e64 s[46:47], 63, v16
	v_mov_b64_e32 v[2:3], 0
	s_waitcnt lgkmcnt(0)
	s_barrier
	s_and_saveexec_b64 s[48:49], s[46:47]
; %bb.355:
	v_lshl_add_u32 v0, v0, 3, -8
	ds_read_b64 v[2:3], v0
; %bb.356:
	s_or_b64 exec, exec, s[48:49]
	v_add_u32_e32 v1, -1, v4
	s_waitcnt lgkmcnt(0)
	v_and_b32_e32 v3, 64, v4
	v_cmp_lt_i32_e64 s[46:47], v1, v3
	v_add_u32_e32 v0, v2, v8
	v_mov_b32_e32 v3, 0
	v_cndmask_b32_e64 v1, v1, v4, s[46:47]
	v_lshlrev_b32_e32 v1, 2, v1
	ds_bpermute_b32 v4, v1, v0
	ds_read_b64 v[0:1], v3 offset:24
	s_waitcnt lgkmcnt(1)
	v_cndmask_b32_e32 v4, v4, v2, vcc
	s_and_saveexec_b64 s[46:47], s[2:3]
	s_cbranch_execz .LBB21_358
; %bb.357:
	s_add_u32 s2, s56, 0x400
	s_addc_u32 s3, s57, 0
	v_mov_b32_e32 v2, 2
	v_mov_b64_e32 v[6:7], s[2:3]
	s_waitcnt lgkmcnt(0)
	;;#ASMSTART
	global_store_dwordx4 v[6:7], v[0:3] off sc1	
s_waitcnt vmcnt(0)
	;;#ASMEND
.LBB21_358:
	s_or_b64 exec, exec, s[46:47]
	v_mov_b64_e32 v[2:3], 0
.LBB21_359:
	s_waitcnt lgkmcnt(0)
	v_sub_u32_e32 v1, v4, v2
	s_barrier
	s_and_saveexec_b64 s[2:3], s[44:45]
	s_cbranch_execnz .LBB21_397
; %bb.360:
	s_or_b64 exec, exec, s[2:3]
	s_and_saveexec_b64 s[0:1], s[42:43]
	s_cbranch_execnz .LBB21_398
.LBB21_361:
	s_or_b64 exec, exec, s[0:1]
	s_and_saveexec_b64 s[0:1], s[40:41]
	s_cbranch_execnz .LBB21_399
.LBB21_362:
	s_or_b64 exec, exec, s[0:1]
	s_and_saveexec_b64 s[0:1], s[38:39]
	s_cbranch_execnz .LBB21_400
.LBB21_363:
	s_or_b64 exec, exec, s[0:1]
	s_and_saveexec_b64 s[0:1], s[36:37]
	s_cbranch_execnz .LBB21_401
.LBB21_364:
	s_or_b64 exec, exec, s[0:1]
	s_and_saveexec_b64 s[0:1], s[34:35]
.LBB21_365:
	v_cndmask_b32_e64 v4, v35, v36, s[12:13]
	v_lshlrev_b32_e32 v5, 2, v1
	v_add_u32_e32 v1, 1, v1
	ds_write_b32 v5, v4 offset:1024
.LBB21_366:
	s_or_b64 exec, exec, s[0:1]
	v_and_b32_e32 v4, 64, v63
	v_cmp_ne_u32_e32 vcc, 0, v4
	s_and_saveexec_b64 s[0:1], vcc
; %bb.367:
	v_cndmask_b32_e64 v4, v37, v38, s[14:15]
	v_lshlrev_b32_e32 v5, 2, v1
	v_add_u32_e32 v1, 1, v1
	ds_write_b32 v5, v4 offset:1024
; %bb.368:
	s_or_b64 exec, exec, s[0:1]
	v_and_b32_e32 v4, 0x80, v62
	v_cmp_ne_u32_e32 vcc, 0, v4
	s_and_saveexec_b64 s[0:1], vcc
; %bb.369:
	v_cndmask_b32_e64 v4, v39, v40, s[16:17]
	v_lshlrev_b32_e32 v5, 2, v1
	v_add_u32_e32 v1, 1, v1
	ds_write_b32 v5, v4 offset:1024
; %bb.370:
	;; [unrolled: 10-line block ×9, first 2 shown]
	s_or_b64 exec, exec, s[0:1]
	v_and_b32_e32 v4, 0x8000, v26
	v_cmp_ne_u32_e32 vcc, 0, v4
	s_and_saveexec_b64 s[2:3], vcc
	s_cbranch_execz .LBB21_386
; %bb.385:
	v_cmp_lt_i32_e32 vcc, v57, v55
	v_cmp_lt_i32_e64 s[0:1], v58, v23
	v_cmp_ge_i32_sdwa s[4:5], v56, sext(v22) src0_sel:DWORD src1_sel:WORD_1
	s_and_b64 s[0:1], s[0:1], vcc
	s_or_b64 vcc, s[4:5], s[0:1]
	v_cndmask_b32_e32 v4, v55, v57, vcc
	v_lshlrev_b32_e32 v1, 2, v1
	ds_write_b32 v1, v4 offset:1024
.LBB21_386:
	s_or_b64 exec, exec, s[2:3]
	v_cmp_lt_i32_e32 vcc, v16, v0
	s_waitcnt lgkmcnt(0)
	s_barrier
	s_and_saveexec_b64 s[0:1], vcc
	s_cbranch_execz .LBB21_396
; %bb.387:
	v_xad_u32 v1, v16, -1, v0
	s_movk_i32 s0, 0xff
	v_cmp_lt_u32_e32 vcc, s0, v1
	s_mov_b64 s[2:3], -1
	v_lshlrev_b64 v[2:3], 2, v[2:3]
	s_and_saveexec_b64 s[0:1], vcc
	s_cbranch_execz .LBB21_393
; %bb.388:
	v_lshrrev_b32_e32 v1, 8, v1
	v_add_u32_e32 v10, 1, v1
	v_and_b32_e32 v1, 0x1fffffe, v10
	v_add_u32_e32 v17, 0x100, v16
	v_mov_b32_e32 v6, 0x400
	v_lshl_add_u64 v[4:5], s[52:53], 0, v[2:3]
	v_lshl_add_u32 v11, v16, 2, v6
	s_mov_b64 s[2:3], 0
	v_mov_b32_e32 v7, 0
	v_mov_b32_e32 v12, v1
	v_mov_b64_e32 v[8:9], v[16:17]
.LBB21_389:                             ; =>This Inner Loop Header: Depth=1
	ds_read2st64_b32 v[14:15], v11 offset1:4
	v_add_u32_e32 v12, -2, v12
	v_mov_b32_e32 v6, v8
	v_cmp_eq_u32_e32 vcc, 0, v12
	v_add_u32_e32 v8, 0x200, v8
	v_add_u32_e32 v11, 0x800, v11
	v_lshl_add_u64 v[18:19], v[6:7], 2, v[4:5]
	v_mov_b32_e32 v6, v9
	v_add_u32_e32 v9, 0x200, v9
	s_or_b64 s[2:3], vcc, s[2:3]
	v_lshl_add_u64 v[20:21], v[6:7], 2, v[4:5]
	s_waitcnt lgkmcnt(0)
	global_store_dword v[18:19], v14, off
	global_store_dword v[20:21], v15, off
	s_andn2_b64 exec, exec, s[2:3]
	s_cbranch_execnz .LBB21_389
; %bb.390:
	s_or_b64 exec, exec, s[2:3]
	v_cmp_ne_u32_e32 vcc, v10, v1
	s_mov_b64 s[2:3], 0
	s_and_saveexec_b64 s[4:5], vcc
; %bb.391:
	s_mov_b64 s[2:3], exec
	v_lshl_add_u32 v16, v1, 8, v16
	v_mov_b32_e32 v17, 0
; %bb.392:
	s_or_b64 exec, exec, s[4:5]
	s_orn2_b64 s[2:3], s[2:3], exec
.LBB21_393:
	s_or_b64 exec, exec, s[0:1]
	s_and_b64 exec, exec, s[2:3]
	s_cbranch_execz .LBB21_396
; %bb.394:
	v_mov_b32_e32 v1, 0x400
	v_lshl_add_u64 v[2:3], s[52:53], 0, v[2:3]
	v_lshl_add_u32 v1, v16, 2, v1
	v_lshl_add_u64 v[2:3], v[16:17], 2, v[2:3]
	s_mov_b64 s[0:1], 0
	s_mov_b64 s[2:3], 0x400
.LBB21_395:                             ; =>This Inner Loop Header: Depth=1
	ds_read_b32 v4, v1
	v_add_u32_e32 v16, 0x100, v16
	v_cmp_ge_i32_e32 vcc, v16, v0
	v_add_u32_e32 v1, 0x400, v1
	s_or_b64 s[0:1], vcc, s[0:1]
	s_waitcnt lgkmcnt(0)
	global_store_dword v[2:3], v4, off
	v_lshl_add_u64 v[2:3], v[2:3], 0, s[2:3]
	s_andn2_b64 exec, exec, s[0:1]
	s_cbranch_execnz .LBB21_395
.LBB21_396:
	s_endpgm
.LBB21_397:
	v_cndmask_b32_e64 v4, v24, v25, s[0:1]
	v_lshlrev_b32_e32 v5, 2, v1
	v_add_u32_e32 v1, 1, v1
	ds_write_b32 v5, v4 offset:1024
	s_or_b64 exec, exec, s[2:3]
	s_and_saveexec_b64 s[0:1], s[42:43]
	s_cbranch_execz .LBB21_361
.LBB21_398:
	v_cndmask_b32_e64 v4, v27, v28, s[4:5]
	v_lshlrev_b32_e32 v5, 2, v1
	v_add_u32_e32 v1, 1, v1
	ds_write_b32 v5, v4 offset:1024
	s_or_b64 exec, exec, s[0:1]
	s_and_saveexec_b64 s[0:1], s[40:41]
	s_cbranch_execz .LBB21_362
.LBB21_399:
	v_cndmask_b32_e64 v4, v29, v30, s[6:7]
	v_lshlrev_b32_e32 v5, 2, v1
	v_add_u32_e32 v1, 1, v1
	ds_write_b32 v5, v4 offset:1024
	s_or_b64 exec, exec, s[0:1]
	s_and_saveexec_b64 s[0:1], s[38:39]
	s_cbranch_execz .LBB21_363
.LBB21_400:
	v_cndmask_b32_e64 v4, v31, v32, s[8:9]
	v_lshlrev_b32_e32 v5, 2, v1
	v_add_u32_e32 v1, 1, v1
	ds_write_b32 v5, v4 offset:1024
	s_or_b64 exec, exec, s[0:1]
	s_and_saveexec_b64 s[0:1], s[36:37]
	s_cbranch_execz .LBB21_364
.LBB21_401:
	v_cndmask_b32_e64 v4, v33, v34, s[10:11]
	v_lshlrev_b32_e32 v5, 2, v1
	v_add_u32_e32 v1, 1, v1
	ds_write_b32 v5, v4 offset:1024
	s_or_b64 exec, exec, s[0:1]
	s_and_saveexec_b64 s[0:1], s[34:35]
	s_cbranch_execnz .LBB21_365
	s_branch .LBB21_366
	.section	.rodata,"a",@progbits
	.p2align	6, 0x0
	.amdhsa_kernel _ZN6thrust23THRUST_200600_302600_NS11hip_rocprim16__set_operations22lookback_set_op_kernelIN7rocprim17ROCPRIM_400000_NS13kernel_configILj256ELj16ELj4294967295EEELb0ENS0_6detail15normal_iteratorINS0_10device_ptrIKiEEEESD_PiSE_lNS9_INSA_IiEEEESE_NS0_4lessIiEENS2_16serial_set_unionENS5_6detail19lookback_scan_stateIlLb0ELb1EEEEEvT1_T2_T3_T4_T6_T7_T8_T9_PNS0_4pairIT5_SW_EEPSW_T10_NSK_16ordered_block_idIjEE
		.amdhsa_group_segment_fixed_size 36868
		.amdhsa_private_segment_fixed_size 0
		.amdhsa_kernarg_size 344
		.amdhsa_user_sgpr_count 2
		.amdhsa_user_sgpr_dispatch_ptr 0
		.amdhsa_user_sgpr_queue_ptr 0
		.amdhsa_user_sgpr_kernarg_segment_ptr 1
		.amdhsa_user_sgpr_dispatch_id 0
		.amdhsa_user_sgpr_kernarg_preload_length 0
		.amdhsa_user_sgpr_kernarg_preload_offset 0
		.amdhsa_user_sgpr_private_segment_size 0
		.amdhsa_uses_dynamic_stack 0
		.amdhsa_enable_private_segment 0
		.amdhsa_system_sgpr_workgroup_id_x 1
		.amdhsa_system_sgpr_workgroup_id_y 0
		.amdhsa_system_sgpr_workgroup_id_z 0
		.amdhsa_system_sgpr_workgroup_info 0
		.amdhsa_system_vgpr_workitem_id 2
		.amdhsa_next_free_vgpr 97
		.amdhsa_next_free_sgpr 96
		.amdhsa_accum_offset 88
		.amdhsa_reserve_vcc 1
		.amdhsa_float_round_mode_32 0
		.amdhsa_float_round_mode_16_64 0
		.amdhsa_float_denorm_mode_32 3
		.amdhsa_float_denorm_mode_16_64 3
		.amdhsa_dx10_clamp 1
		.amdhsa_ieee_mode 1
		.amdhsa_fp16_overflow 0
		.amdhsa_tg_split 0
		.amdhsa_exception_fp_ieee_invalid_op 0
		.amdhsa_exception_fp_denorm_src 0
		.amdhsa_exception_fp_ieee_div_zero 0
		.amdhsa_exception_fp_ieee_overflow 0
		.amdhsa_exception_fp_ieee_underflow 0
		.amdhsa_exception_fp_ieee_inexact 0
		.amdhsa_exception_int_div_zero 0
	.end_amdhsa_kernel
	.section	.text._ZN6thrust23THRUST_200600_302600_NS11hip_rocprim16__set_operations22lookback_set_op_kernelIN7rocprim17ROCPRIM_400000_NS13kernel_configILj256ELj16ELj4294967295EEELb0ENS0_6detail15normal_iteratorINS0_10device_ptrIKiEEEESD_PiSE_lNS9_INSA_IiEEEESE_NS0_4lessIiEENS2_16serial_set_unionENS5_6detail19lookback_scan_stateIlLb0ELb1EEEEEvT1_T2_T3_T4_T6_T7_T8_T9_PNS0_4pairIT5_SW_EEPSW_T10_NSK_16ordered_block_idIjEE,"axG",@progbits,_ZN6thrust23THRUST_200600_302600_NS11hip_rocprim16__set_operations22lookback_set_op_kernelIN7rocprim17ROCPRIM_400000_NS13kernel_configILj256ELj16ELj4294967295EEELb0ENS0_6detail15normal_iteratorINS0_10device_ptrIKiEEEESD_PiSE_lNS9_INSA_IiEEEESE_NS0_4lessIiEENS2_16serial_set_unionENS5_6detail19lookback_scan_stateIlLb0ELb1EEEEEvT1_T2_T3_T4_T6_T7_T8_T9_PNS0_4pairIT5_SW_EEPSW_T10_NSK_16ordered_block_idIjEE,comdat
.Lfunc_end21:
	.size	_ZN6thrust23THRUST_200600_302600_NS11hip_rocprim16__set_operations22lookback_set_op_kernelIN7rocprim17ROCPRIM_400000_NS13kernel_configILj256ELj16ELj4294967295EEELb0ENS0_6detail15normal_iteratorINS0_10device_ptrIKiEEEESD_PiSE_lNS9_INSA_IiEEEESE_NS0_4lessIiEENS2_16serial_set_unionENS5_6detail19lookback_scan_stateIlLb0ELb1EEEEEvT1_T2_T3_T4_T6_T7_T8_T9_PNS0_4pairIT5_SW_EEPSW_T10_NSK_16ordered_block_idIjEE, .Lfunc_end21-_ZN6thrust23THRUST_200600_302600_NS11hip_rocprim16__set_operations22lookback_set_op_kernelIN7rocprim17ROCPRIM_400000_NS13kernel_configILj256ELj16ELj4294967295EEELb0ENS0_6detail15normal_iteratorINS0_10device_ptrIKiEEEESD_PiSE_lNS9_INSA_IiEEEESE_NS0_4lessIiEENS2_16serial_set_unionENS5_6detail19lookback_scan_stateIlLb0ELb1EEEEEvT1_T2_T3_T4_T6_T7_T8_T9_PNS0_4pairIT5_SW_EEPSW_T10_NSK_16ordered_block_idIjEE
                                        ; -- End function
	.set _ZN6thrust23THRUST_200600_302600_NS11hip_rocprim16__set_operations22lookback_set_op_kernelIN7rocprim17ROCPRIM_400000_NS13kernel_configILj256ELj16ELj4294967295EEELb0ENS0_6detail15normal_iteratorINS0_10device_ptrIKiEEEESD_PiSE_lNS9_INSA_IiEEEESE_NS0_4lessIiEENS2_16serial_set_unionENS5_6detail19lookback_scan_stateIlLb0ELb1EEEEEvT1_T2_T3_T4_T6_T7_T8_T9_PNS0_4pairIT5_SW_EEPSW_T10_NSK_16ordered_block_idIjEE.num_vgpr, 86
	.set _ZN6thrust23THRUST_200600_302600_NS11hip_rocprim16__set_operations22lookback_set_op_kernelIN7rocprim17ROCPRIM_400000_NS13kernel_configILj256ELj16ELj4294967295EEELb0ENS0_6detail15normal_iteratorINS0_10device_ptrIKiEEEESD_PiSE_lNS9_INSA_IiEEEESE_NS0_4lessIiEENS2_16serial_set_unionENS5_6detail19lookback_scan_stateIlLb0ELb1EEEEEvT1_T2_T3_T4_T6_T7_T8_T9_PNS0_4pairIT5_SW_EEPSW_T10_NSK_16ordered_block_idIjEE.num_agpr, 0
	.set _ZN6thrust23THRUST_200600_302600_NS11hip_rocprim16__set_operations22lookback_set_op_kernelIN7rocprim17ROCPRIM_400000_NS13kernel_configILj256ELj16ELj4294967295EEELb0ENS0_6detail15normal_iteratorINS0_10device_ptrIKiEEEESD_PiSE_lNS9_INSA_IiEEEESE_NS0_4lessIiEENS2_16serial_set_unionENS5_6detail19lookback_scan_stateIlLb0ELb1EEEEEvT1_T2_T3_T4_T6_T7_T8_T9_PNS0_4pairIT5_SW_EEPSW_T10_NSK_16ordered_block_idIjEE.numbered_sgpr, 64
	.set _ZN6thrust23THRUST_200600_302600_NS11hip_rocprim16__set_operations22lookback_set_op_kernelIN7rocprim17ROCPRIM_400000_NS13kernel_configILj256ELj16ELj4294967295EEELb0ENS0_6detail15normal_iteratorINS0_10device_ptrIKiEEEESD_PiSE_lNS9_INSA_IiEEEESE_NS0_4lessIiEENS2_16serial_set_unionENS5_6detail19lookback_scan_stateIlLb0ELb1EEEEEvT1_T2_T3_T4_T6_T7_T8_T9_PNS0_4pairIT5_SW_EEPSW_T10_NSK_16ordered_block_idIjEE.num_named_barrier, 0
	.set _ZN6thrust23THRUST_200600_302600_NS11hip_rocprim16__set_operations22lookback_set_op_kernelIN7rocprim17ROCPRIM_400000_NS13kernel_configILj256ELj16ELj4294967295EEELb0ENS0_6detail15normal_iteratorINS0_10device_ptrIKiEEEESD_PiSE_lNS9_INSA_IiEEEESE_NS0_4lessIiEENS2_16serial_set_unionENS5_6detail19lookback_scan_stateIlLb0ELb1EEEEEvT1_T2_T3_T4_T6_T7_T8_T9_PNS0_4pairIT5_SW_EEPSW_T10_NSK_16ordered_block_idIjEE.private_seg_size, 0
	.set _ZN6thrust23THRUST_200600_302600_NS11hip_rocprim16__set_operations22lookback_set_op_kernelIN7rocprim17ROCPRIM_400000_NS13kernel_configILj256ELj16ELj4294967295EEELb0ENS0_6detail15normal_iteratorINS0_10device_ptrIKiEEEESD_PiSE_lNS9_INSA_IiEEEESE_NS0_4lessIiEENS2_16serial_set_unionENS5_6detail19lookback_scan_stateIlLb0ELb1EEEEEvT1_T2_T3_T4_T6_T7_T8_T9_PNS0_4pairIT5_SW_EEPSW_T10_NSK_16ordered_block_idIjEE.uses_vcc, 1
	.set _ZN6thrust23THRUST_200600_302600_NS11hip_rocprim16__set_operations22lookback_set_op_kernelIN7rocprim17ROCPRIM_400000_NS13kernel_configILj256ELj16ELj4294967295EEELb0ENS0_6detail15normal_iteratorINS0_10device_ptrIKiEEEESD_PiSE_lNS9_INSA_IiEEEESE_NS0_4lessIiEENS2_16serial_set_unionENS5_6detail19lookback_scan_stateIlLb0ELb1EEEEEvT1_T2_T3_T4_T6_T7_T8_T9_PNS0_4pairIT5_SW_EEPSW_T10_NSK_16ordered_block_idIjEE.uses_flat_scratch, 0
	.set _ZN6thrust23THRUST_200600_302600_NS11hip_rocprim16__set_operations22lookback_set_op_kernelIN7rocprim17ROCPRIM_400000_NS13kernel_configILj256ELj16ELj4294967295EEELb0ENS0_6detail15normal_iteratorINS0_10device_ptrIKiEEEESD_PiSE_lNS9_INSA_IiEEEESE_NS0_4lessIiEENS2_16serial_set_unionENS5_6detail19lookback_scan_stateIlLb0ELb1EEEEEvT1_T2_T3_T4_T6_T7_T8_T9_PNS0_4pairIT5_SW_EEPSW_T10_NSK_16ordered_block_idIjEE.has_dyn_sized_stack, 0
	.set _ZN6thrust23THRUST_200600_302600_NS11hip_rocprim16__set_operations22lookback_set_op_kernelIN7rocprim17ROCPRIM_400000_NS13kernel_configILj256ELj16ELj4294967295EEELb0ENS0_6detail15normal_iteratorINS0_10device_ptrIKiEEEESD_PiSE_lNS9_INSA_IiEEEESE_NS0_4lessIiEENS2_16serial_set_unionENS5_6detail19lookback_scan_stateIlLb0ELb1EEEEEvT1_T2_T3_T4_T6_T7_T8_T9_PNS0_4pairIT5_SW_EEPSW_T10_NSK_16ordered_block_idIjEE.has_recursion, 0
	.set _ZN6thrust23THRUST_200600_302600_NS11hip_rocprim16__set_operations22lookback_set_op_kernelIN7rocprim17ROCPRIM_400000_NS13kernel_configILj256ELj16ELj4294967295EEELb0ENS0_6detail15normal_iteratorINS0_10device_ptrIKiEEEESD_PiSE_lNS9_INSA_IiEEEESE_NS0_4lessIiEENS2_16serial_set_unionENS5_6detail19lookback_scan_stateIlLb0ELb1EEEEEvT1_T2_T3_T4_T6_T7_T8_T9_PNS0_4pairIT5_SW_EEPSW_T10_NSK_16ordered_block_idIjEE.has_indirect_call, 0
	.section	.AMDGPU.csdata,"",@progbits
; Kernel info:
; codeLenInByte = 19292
; TotalNumSgprs: 70
; NumVgprs: 86
; NumAgprs: 0
; TotalNumVgprs: 86
; ScratchSize: 0
; MemoryBound: 0
; FloatMode: 240
; IeeeMode: 1
; LDSByteSize: 36868 bytes/workgroup (compile time only)
; SGPRBlocks: 12
; VGPRBlocks: 12
; NumSGPRsForWavesPerEU: 102
; NumVGPRsForWavesPerEU: 97
; AccumOffset: 88
; Occupancy: 4
; WaveLimiterHint : 1
; COMPUTE_PGM_RSRC2:SCRATCH_EN: 0
; COMPUTE_PGM_RSRC2:USER_SGPR: 2
; COMPUTE_PGM_RSRC2:TRAP_HANDLER: 0
; COMPUTE_PGM_RSRC2:TGID_X_EN: 1
; COMPUTE_PGM_RSRC2:TGID_Y_EN: 0
; COMPUTE_PGM_RSRC2:TGID_Z_EN: 0
; COMPUTE_PGM_RSRC2:TIDIG_COMP_CNT: 2
; COMPUTE_PGM_RSRC3_GFX90A:ACCUM_OFFSET: 21
; COMPUTE_PGM_RSRC3_GFX90A:TG_SPLIT: 0
	.section	.text._ZN6thrust23THRUST_200600_302600_NS11hip_rocprim14__parallel_for6kernelILj256EZNS1_16__set_operations9doit_stepILb0ENS0_6detail15normal_iteratorINS0_10device_ptrIKiEEEESB_PiSC_lNS7_INS8_IiEEEESC_NS0_4lessIiEENS4_23serial_set_intersectionEEE10hipError_tPvRmT0_T1_T2_T3_T4_SP_T5_T6_PSP_T7_T8_P12ihipStream_tbEUllE_jLj1EEEvSL_SM_SM_,"axG",@progbits,_ZN6thrust23THRUST_200600_302600_NS11hip_rocprim14__parallel_for6kernelILj256EZNS1_16__set_operations9doit_stepILb0ENS0_6detail15normal_iteratorINS0_10device_ptrIKiEEEESB_PiSC_lNS7_INS8_IiEEEESC_NS0_4lessIiEENS4_23serial_set_intersectionEEE10hipError_tPvRmT0_T1_T2_T3_T4_SP_T5_T6_PSP_T7_T8_P12ihipStream_tbEUllE_jLj1EEEvSL_SM_SM_,comdat
	.protected	_ZN6thrust23THRUST_200600_302600_NS11hip_rocprim14__parallel_for6kernelILj256EZNS1_16__set_operations9doit_stepILb0ENS0_6detail15normal_iteratorINS0_10device_ptrIKiEEEESB_PiSC_lNS7_INS8_IiEEEESC_NS0_4lessIiEENS4_23serial_set_intersectionEEE10hipError_tPvRmT0_T1_T2_T3_T4_SP_T5_T6_PSP_T7_T8_P12ihipStream_tbEUllE_jLj1EEEvSL_SM_SM_ ; -- Begin function _ZN6thrust23THRUST_200600_302600_NS11hip_rocprim14__parallel_for6kernelILj256EZNS1_16__set_operations9doit_stepILb0ENS0_6detail15normal_iteratorINS0_10device_ptrIKiEEEESB_PiSC_lNS7_INS8_IiEEEESC_NS0_4lessIiEENS4_23serial_set_intersectionEEE10hipError_tPvRmT0_T1_T2_T3_T4_SP_T5_T6_PSP_T7_T8_P12ihipStream_tbEUllE_jLj1EEEvSL_SM_SM_
	.globl	_ZN6thrust23THRUST_200600_302600_NS11hip_rocprim14__parallel_for6kernelILj256EZNS1_16__set_operations9doit_stepILb0ENS0_6detail15normal_iteratorINS0_10device_ptrIKiEEEESB_PiSC_lNS7_INS8_IiEEEESC_NS0_4lessIiEENS4_23serial_set_intersectionEEE10hipError_tPvRmT0_T1_T2_T3_T4_SP_T5_T6_PSP_T7_T8_P12ihipStream_tbEUllE_jLj1EEEvSL_SM_SM_
	.p2align	8
	.type	_ZN6thrust23THRUST_200600_302600_NS11hip_rocprim14__parallel_for6kernelILj256EZNS1_16__set_operations9doit_stepILb0ENS0_6detail15normal_iteratorINS0_10device_ptrIKiEEEESB_PiSC_lNS7_INS8_IiEEEESC_NS0_4lessIiEENS4_23serial_set_intersectionEEE10hipError_tPvRmT0_T1_T2_T3_T4_SP_T5_T6_PSP_T7_T8_P12ihipStream_tbEUllE_jLj1EEEvSL_SM_SM_,@function
_ZN6thrust23THRUST_200600_302600_NS11hip_rocprim14__parallel_for6kernelILj256EZNS1_16__set_operations9doit_stepILb0ENS0_6detail15normal_iteratorINS0_10device_ptrIKiEEEESB_PiSC_lNS7_INS8_IiEEEESC_NS0_4lessIiEENS4_23serial_set_intersectionEEE10hipError_tPvRmT0_T1_T2_T3_T4_SP_T5_T6_PSP_T7_T8_P12ihipStream_tbEUllE_jLj1EEEvSL_SM_SM_: ; @_ZN6thrust23THRUST_200600_302600_NS11hip_rocprim14__parallel_for6kernelILj256EZNS1_16__set_operations9doit_stepILb0ENS0_6detail15normal_iteratorINS0_10device_ptrIKiEEEESB_PiSC_lNS7_INS8_IiEEEESC_NS0_4lessIiEENS4_23serial_set_intersectionEEE10hipError_tPvRmT0_T1_T2_T3_T4_SP_T5_T6_PSP_T7_T8_P12ihipStream_tbEUllE_jLj1EEEvSL_SM_SM_
; %bb.0:
	s_load_dwordx2 s[14:15], s[0:1], 0x30
	s_load_dwordx2 s[12:13], s[0:1], 0x20
	s_load_dwordx8 s[4:11], s[0:1], 0x0
	s_lshl_b32 s0, s2, 8
	s_waitcnt lgkmcnt(0)
	s_add_i32 s18, s15, s0
	s_sub_i32 s2, s14, s18
	s_cmpk_gt_u32 s2, 0xff
	s_mov_b64 s[0:1], -1
	s_cbranch_scc0 .LBB22_3
; %bb.1:
	s_andn2_b64 vcc, exec, s[0:1]
	s_cbranch_vccz .LBB22_40
.LBB22_2:
	s_endpgm
.LBB22_3:
	v_cmp_gt_u32_e32 vcc, s2, v0
	s_and_saveexec_b64 s[2:3], vcc
	s_cbranch_execz .LBB22_39
; %bb.4:
	v_add_u32_e32 v4, s18, v0
	s_movk_i32 s0, 0xfff
	v_mad_u64_u32 v[2:3], s[0:1], v4, s0, 0
	s_add_u32 s0, s6, s4
	s_addc_u32 s1, s7, s5
	v_mov_b32_e32 v1, s1
	v_cmp_lt_i64_e32 vcc, s[0:1], v[2:3]
	v_mov_b32_e32 v5, 0
	s_nop 0
	v_cndmask_b32_e32 v7, v3, v1, vcc
	v_mov_b32_e32 v1, s0
	v_cndmask_b32_e32 v6, v2, v1, vcc
	v_mov_b32_e32 v1, s7
	v_subrev_co_u32_e32 v2, vcc, s6, v6
	s_mov_b64 s[0:1], 0
	s_nop 0
	v_subb_co_u32_e32 v3, vcc, v7, v1, vcc
	v_cmp_lt_i64_e32 vcc, 0, v[2:3]
	v_mov_b32_e32 v1, s5
	s_nop 0
	v_cndmask_b32_e32 v3, 0, v3, vcc
	v_cndmask_b32_e32 v2, 0, v2, vcc
	v_cmp_lt_i64_e32 vcc, s[4:5], v[6:7]
	s_nop 1
	v_cndmask_b32_e32 v9, v7, v1, vcc
	v_mov_b32_e32 v1, s4
	v_cndmask_b32_e32 v8, v6, v1, vcc
	v_cmp_lt_i64_e32 vcc, v[2:3], v[8:9]
	s_and_saveexec_b64 s[14:15], vcc
	s_cbranch_execz .LBB22_8
; %bb.5:
	v_lshl_add_u64 v[10:11], v[6:7], 2, s[12:13]
.LBB22_6:                               ; =>This Inner Loop Header: Depth=1
	v_lshl_add_u64 v[12:13], v[8:9], 0, v[2:3]
	v_lshrrev_b64 v[12:13], 1, v[12:13]
	v_lshlrev_b64 v[14:15], 2, v[12:13]
	v_lshl_add_u64 v[16:17], s[10:11], 0, v[14:15]
	v_xor_b32_e32 v15, -1, v15
	v_xor_b32_e32 v14, -4, v14
	v_lshl_add_u64 v[14:15], v[10:11], 0, v[14:15]
	global_load_dword v1, v[16:17], off
	s_nop 0
	global_load_dword v16, v[14:15], off
	v_lshl_add_u64 v[14:15], v[12:13], 0, 1
	s_waitcnt vmcnt(0)
	v_cmp_lt_i32_e32 vcc, v16, v1
	s_nop 1
	v_cndmask_b32_e32 v9, v9, v13, vcc
	v_cndmask_b32_e32 v8, v8, v12, vcc
	;; [unrolled: 1-line block ×4, first 2 shown]
	v_cmp_ge_i64_e32 vcc, v[2:3], v[8:9]
	s_or_b64 s[0:1], vcc, s[0:1]
	s_andn2_b64 exec, exec, s[0:1]
	s_cbranch_execnz .LBB22_6
; %bb.7:
	s_or_b64 exec, exec, s[0:1]
.LBB22_8:
	s_or_b64 exec, exec, s[14:15]
	v_sub_co_u32_e32 v12, vcc, v6, v2
	v_mov_b64_e32 v[10:11], 0
	s_nop 0
	v_subb_co_u32_e32 v13, vcc, v7, v3, vcc
	v_cmp_gt_i64_e32 vcc, s[6:7], v[12:13]
	s_and_saveexec_b64 s[14:15], vcc
	s_cbranch_execz .LBB22_38
; %bb.9:
	v_lshl_add_u64 v[10:11], v[12:13], 2, s[12:13]
	global_load_dword v1, v[10:11], off
	v_mov_b64_e32 v[8:9], 0
	v_cmp_lt_i64_e32 vcc, 0, v[2:3]
	v_mov_b64_e32 v[14:15], 0
	s_and_saveexec_b64 s[0:1], vcc
	s_cbranch_execnz .LBB22_14
; %bb.10:
	s_or_b64 exec, exec, s[0:1]
	v_cmp_lt_u64_e32 vcc, v[8:9], v[14:15]
	s_and_saveexec_b64 s[0:1], vcc
	s_cbranch_execnz .LBB22_15
.LBB22_11:
	s_or_b64 exec, exec, s[0:1]
	v_cmp_lt_u64_e32 vcc, v[8:9], v[14:15]
	s_and_saveexec_b64 s[0:1], vcc
	s_cbranch_execnz .LBB22_16
.LBB22_12:
	s_or_b64 exec, exec, s[0:1]
	v_cmp_lt_u64_e32 vcc, v[8:9], v[14:15]
	s_and_saveexec_b64 s[0:1], vcc
	s_cbranch_execnz .LBB22_17
.LBB22_13:
	s_or_b64 exec, exec, s[0:1]
	v_cmp_lt_u64_e32 vcc, v[8:9], v[14:15]
	s_and_saveexec_b64 s[0:1], vcc
	s_cbranch_execnz .LBB22_18
	s_branch .LBB22_21
.LBB22_14:
	s_movk_i32 s19, 0x1ff
	v_mad_u64_u32 v[8:9], s[16:17], v2, s19, 0
	v_mov_b32_e32 v14, v9
	v_mad_u64_u32 v[14:15], s[16:17], v3, s19, v[14:15]
	v_mov_b32_e32 v9, v14
	v_lshrrev_b64 v[14:15], 9, v[8:9]
	v_lshl_add_u64 v[8:9], v[14:15], 2, s[10:11]
	global_load_dword v16, v[8:9], off
	v_lshl_add_u64 v[8:9], v[14:15], 0, 1
	s_waitcnt vmcnt(0)
	v_cmp_lt_i32_e32 vcc, v16, v1
	s_nop 1
	v_cndmask_b32_e32 v9, 0, v9, vcc
	v_cndmask_b32_e32 v8, 0, v8, vcc
	;; [unrolled: 1-line block ×4, first 2 shown]
	s_or_b64 exec, exec, s[0:1]
	v_cmp_lt_u64_e32 vcc, v[8:9], v[14:15]
	s_and_saveexec_b64 s[0:1], vcc
	s_cbranch_execz .LBB22_11
.LBB22_15:
	s_movk_i32 s19, 0x7f
	v_mad_u64_u32 v[16:17], s[16:17], v14, s19, v[8:9]
	v_mov_b32_e32 v18, v17
	v_mad_u64_u32 v[18:19], s[16:17], v15, s19, v[18:19]
	v_mov_b32_e32 v17, v18
	v_lshrrev_b64 v[16:17], 7, v[16:17]
	v_lshl_add_u64 v[18:19], v[16:17], 2, s[10:11]
	global_load_dword v20, v[18:19], off
	v_lshl_add_u64 v[18:19], v[16:17], 0, 1
	s_waitcnt vmcnt(0)
	v_cmp_lt_i32_e32 vcc, v20, v1
	s_nop 1
	v_cndmask_b32_e32 v9, v9, v19, vcc
	v_cndmask_b32_e32 v8, v8, v18, vcc
	v_cndmask_b32_e32 v15, v17, v15, vcc
	v_cndmask_b32_e32 v14, v16, v14, vcc
	s_or_b64 exec, exec, s[0:1]
	v_cmp_lt_u64_e32 vcc, v[8:9], v[14:15]
	s_and_saveexec_b64 s[0:1], vcc
	s_cbranch_execz .LBB22_12
.LBB22_16:
	v_mad_u64_u32 v[16:17], s[16:17], v14, 31, v[8:9]
	v_mov_b32_e32 v18, v17
	v_mad_u64_u32 v[18:19], s[16:17], v15, 31, v[18:19]
	v_mov_b32_e32 v17, v18
	v_lshrrev_b64 v[16:17], 5, v[16:17]
	v_lshl_add_u64 v[18:19], v[16:17], 2, s[10:11]
	global_load_dword v20, v[18:19], off
	v_lshl_add_u64 v[18:19], v[16:17], 0, 1
	s_waitcnt vmcnt(0)
	v_cmp_lt_i32_e32 vcc, v20, v1
	s_nop 1
	v_cndmask_b32_e32 v9, v9, v19, vcc
	v_cndmask_b32_e32 v8, v8, v18, vcc
	;; [unrolled: 1-line block ×4, first 2 shown]
	s_or_b64 exec, exec, s[0:1]
	v_cmp_lt_u64_e32 vcc, v[8:9], v[14:15]
	s_and_saveexec_b64 s[0:1], vcc
	s_cbranch_execz .LBB22_13
.LBB22_17:
	v_mad_u64_u32 v[16:17], s[16:17], v14, 15, v[8:9]
	v_mov_b32_e32 v18, v17
	v_mad_u64_u32 v[18:19], s[16:17], v15, 15, v[18:19]
	v_mov_b32_e32 v17, v18
	v_lshrrev_b64 v[16:17], 4, v[16:17]
	v_lshl_add_u64 v[18:19], v[16:17], 2, s[10:11]
	global_load_dword v20, v[18:19], off
	v_lshl_add_u64 v[18:19], v[16:17], 0, 1
	s_waitcnt vmcnt(0)
	v_cmp_lt_i32_e32 vcc, v20, v1
	s_nop 1
	v_cndmask_b32_e32 v9, v9, v19, vcc
	v_cndmask_b32_e32 v8, v8, v18, vcc
	v_cndmask_b32_e32 v15, v17, v15, vcc
	v_cndmask_b32_e32 v14, v16, v14, vcc
	s_or_b64 exec, exec, s[0:1]
	v_cmp_lt_u64_e32 vcc, v[8:9], v[14:15]
	s_and_saveexec_b64 s[0:1], vcc
	s_cbranch_execz .LBB22_21
.LBB22_18:
	s_mov_b64 s[16:17], 0
.LBB22_19:                              ; =>This Inner Loop Header: Depth=1
	v_lshl_add_u64 v[16:17], v[8:9], 0, v[14:15]
	v_lshrrev_b64 v[16:17], 1, v[16:17]
	v_lshl_add_u64 v[18:19], v[16:17], 2, s[10:11]
	global_load_dword v20, v[18:19], off
	v_lshl_add_u64 v[18:19], v[16:17], 0, 1
	s_waitcnt vmcnt(0)
	v_cmp_lt_i32_e32 vcc, v20, v1
	s_nop 1
	v_cndmask_b32_e32 v9, v9, v19, vcc
	v_cndmask_b32_e32 v8, v8, v18, vcc
	;; [unrolled: 1-line block ×4, first 2 shown]
	v_cmp_ge_i64_e32 vcc, v[8:9], v[14:15]
	s_or_b64 s[16:17], vcc, s[16:17]
	s_andn2_b64 exec, exec, s[16:17]
	s_cbranch_execnz .LBB22_19
; %bb.20:
	s_or_b64 exec, exec, s[16:17]
.LBB22_21:
	s_or_b64 exec, exec, s[0:1]
	v_mov_b64_e32 v[14:15], 0
	v_cmp_lt_i64_e32 vcc, 0, v[12:13]
	v_mov_b64_e32 v[16:17], v[12:13]
	s_and_saveexec_b64 s[0:1], vcc
	s_cbranch_execnz .LBB22_26
; %bb.22:
	s_or_b64 exec, exec, s[0:1]
	v_cmp_lt_i64_e32 vcc, v[14:15], v[16:17]
	s_and_saveexec_b64 s[0:1], vcc
	s_cbranch_execnz .LBB22_27
.LBB22_23:
	s_or_b64 exec, exec, s[0:1]
	v_cmp_lt_i64_e32 vcc, v[14:15], v[16:17]
	s_and_saveexec_b64 s[0:1], vcc
	s_cbranch_execnz .LBB22_28
.LBB22_24:
	s_or_b64 exec, exec, s[0:1]
	v_cmp_lt_i64_e32 vcc, v[14:15], v[16:17]
	s_and_saveexec_b64 s[0:1], vcc
	s_cbranch_execnz .LBB22_29
.LBB22_25:
	s_or_b64 exec, exec, s[0:1]
	v_cmp_lt_i64_e32 vcc, v[14:15], v[16:17]
	s_and_saveexec_b64 s[0:1], vcc
	s_cbranch_execnz .LBB22_30
	s_branch .LBB22_33
.LBB22_26:
	s_movk_i32 s19, 0x1ff
	v_mad_u64_u32 v[14:15], s[16:17], v12, s19, 0
	v_mov_b32_e32 v16, v15
	v_mad_u64_u32 v[16:17], s[16:17], v13, s19, v[16:17]
	v_mov_b32_e32 v15, v16
	v_lshrrev_b64 v[16:17], 9, v[14:15]
	v_lshl_add_u64 v[14:15], v[16:17], 2, s[12:13]
	global_load_dword v18, v[14:15], off
	v_lshl_add_u64 v[14:15], v[16:17], 0, 1
	s_waitcnt vmcnt(0)
	v_cmp_lt_i32_e32 vcc, v18, v1
	s_nop 1
	v_cndmask_b32_e32 v15, 0, v15, vcc
	v_cndmask_b32_e32 v14, 0, v14, vcc
	;; [unrolled: 1-line block ×4, first 2 shown]
	s_or_b64 exec, exec, s[0:1]
	v_cmp_lt_i64_e32 vcc, v[14:15], v[16:17]
	s_and_saveexec_b64 s[0:1], vcc
	s_cbranch_execz .LBB22_23
.LBB22_27:
	s_movk_i32 s19, 0x7f
	v_mad_u64_u32 v[18:19], s[16:17], v16, s19, v[14:15]
	v_mov_b32_e32 v20, v19
	v_mad_u64_u32 v[20:21], s[16:17], v17, s19, v[20:21]
	v_mov_b32_e32 v19, v20
	v_lshrrev_b64 v[18:19], 7, v[18:19]
	v_lshl_add_u64 v[20:21], v[18:19], 2, s[12:13]
	global_load_dword v22, v[20:21], off
	v_lshl_add_u64 v[20:21], v[18:19], 0, 1
	s_waitcnt vmcnt(0)
	v_cmp_lt_i32_e32 vcc, v22, v1
	s_nop 1
	v_cndmask_b32_e32 v15, v15, v21, vcc
	v_cndmask_b32_e32 v14, v14, v20, vcc
	;; [unrolled: 1-line block ×4, first 2 shown]
	s_or_b64 exec, exec, s[0:1]
	v_cmp_lt_i64_e32 vcc, v[14:15], v[16:17]
	s_and_saveexec_b64 s[0:1], vcc
	s_cbranch_execz .LBB22_24
.LBB22_28:
	v_mad_u64_u32 v[18:19], s[16:17], v16, 31, v[14:15]
	v_mov_b32_e32 v20, v19
	v_mad_u64_u32 v[20:21], s[16:17], v17, 31, v[20:21]
	v_mov_b32_e32 v19, v20
	v_lshrrev_b64 v[18:19], 5, v[18:19]
	v_lshl_add_u64 v[20:21], v[18:19], 2, s[12:13]
	global_load_dword v22, v[20:21], off
	v_lshl_add_u64 v[20:21], v[18:19], 0, 1
	s_waitcnt vmcnt(0)
	v_cmp_lt_i32_e32 vcc, v22, v1
	s_nop 1
	v_cndmask_b32_e32 v15, v15, v21, vcc
	v_cndmask_b32_e32 v14, v14, v20, vcc
	;; [unrolled: 1-line block ×4, first 2 shown]
	s_or_b64 exec, exec, s[0:1]
	v_cmp_lt_i64_e32 vcc, v[14:15], v[16:17]
	s_and_saveexec_b64 s[0:1], vcc
	s_cbranch_execz .LBB22_25
.LBB22_29:
	v_mad_u64_u32 v[18:19], s[16:17], v16, 15, v[14:15]
	v_mov_b32_e32 v20, v19
	v_mad_u64_u32 v[20:21], s[16:17], v17, 15, v[20:21]
	v_mov_b32_e32 v19, v20
	v_lshrrev_b64 v[18:19], 4, v[18:19]
	v_lshl_add_u64 v[20:21], v[18:19], 2, s[12:13]
	global_load_dword v22, v[20:21], off
	v_lshl_add_u64 v[20:21], v[18:19], 0, 1
	s_waitcnt vmcnt(0)
	v_cmp_lt_i32_e32 vcc, v22, v1
	s_nop 1
	v_cndmask_b32_e32 v15, v15, v21, vcc
	v_cndmask_b32_e32 v14, v14, v20, vcc
	;; [unrolled: 1-line block ×4, first 2 shown]
	s_or_b64 exec, exec, s[0:1]
	v_cmp_lt_i64_e32 vcc, v[14:15], v[16:17]
	s_and_saveexec_b64 s[0:1], vcc
	s_cbranch_execz .LBB22_33
.LBB22_30:
	s_mov_b64 s[16:17], 0
.LBB22_31:                              ; =>This Inner Loop Header: Depth=1
	v_lshl_add_u64 v[18:19], v[14:15], 0, v[16:17]
	v_lshrrev_b64 v[18:19], 1, v[18:19]
	v_lshl_add_u64 v[20:21], v[18:19], 2, s[12:13]
	global_load_dword v22, v[20:21], off
	v_lshl_add_u64 v[20:21], v[18:19], 0, 1
	s_waitcnt vmcnt(0)
	v_cmp_lt_i32_e32 vcc, v22, v1
	s_nop 1
	v_cndmask_b32_e32 v15, v15, v21, vcc
	v_cndmask_b32_e32 v14, v14, v20, vcc
	;; [unrolled: 1-line block ×4, first 2 shown]
	v_cmp_ge_i64_e32 vcc, v[14:15], v[16:17]
	s_or_b64 s[16:17], vcc, s[16:17]
	s_andn2_b64 exec, exec, s[16:17]
	s_cbranch_execnz .LBB22_31
; %bb.32:
	s_or_b64 exec, exec, s[16:17]
.LBB22_33:
	s_or_b64 exec, exec, s[0:1]
	v_sub_co_u32_e32 v2, vcc, v2, v8
	v_mov_b32_e32 v20, s7
	s_nop 0
	v_subb_co_u32_e32 v3, vcc, v3, v9, vcc
	v_sub_co_u32_e32 v18, vcc, v12, v14
	s_nop 1
	v_subb_co_u32_e32 v19, vcc, v13, v15, vcc
	v_lshl_add_u64 v[16:17], v[18:19], 0, v[2:3]
	v_ashrrev_i64 v[2:3], 1, v[16:17]
	v_cmp_gt_i64_e32 vcc, v[2:3], v[18:19]
	s_nop 1
	v_cndmask_b32_e32 v3, v19, v3, vcc
	v_cndmask_b32_e32 v2, v18, v2, vcc
	v_lshl_add_u64 v[14:15], v[14:15], 0, v[2:3]
	v_lshl_add_u64 v[14:15], v[14:15], 0, 1
	v_cmp_gt_i64_e32 vcc, s[6:7], v[14:15]
	s_nop 1
	v_cndmask_b32_e32 v15, v20, v15, vcc
	v_mov_b32_e32 v20, s6
	v_cndmask_b32_e32 v14, v20, v14, vcc
	v_sub_co_u32_e32 v14, vcc, v14, v12
	s_nop 1
	v_subb_co_u32_e32 v15, vcc, v15, v13, vcc
	v_mov_b64_e32 v[12:13], 0
	v_cmp_lt_i64_e32 vcc, 0, v[14:15]
	s_and_saveexec_b64 s[0:1], vcc
	s_cbranch_execz .LBB22_37
; %bb.34:
	s_mov_b64 s[16:17], 0
	v_mov_b64_e32 v[12:13], 0
.LBB22_35:                              ; =>This Inner Loop Header: Depth=1
	v_lshl_add_u64 v[20:21], v[12:13], 0, v[14:15]
	v_lshrrev_b64 v[20:21], 1, v[20:21]
	v_lshl_add_u64 v[22:23], v[20:21], 2, v[10:11]
	global_load_dword v24, v[22:23], off
	v_lshl_add_u64 v[22:23], v[20:21], 0, 1
	s_waitcnt vmcnt(0)
	v_cmp_lt_i32_e32 vcc, v1, v24
	s_nop 1
	v_cndmask_b32_e32 v13, v23, v13, vcc
	v_cndmask_b32_e32 v12, v22, v12, vcc
	;; [unrolled: 1-line block ×4, first 2 shown]
	v_cmp_ge_i64_e32 vcc, v[12:13], v[14:15]
	s_or_b64 s[16:17], vcc, s[16:17]
	s_andn2_b64 exec, exec, s[16:17]
	s_cbranch_execnz .LBB22_35
; %bb.36:
	s_or_b64 exec, exec, s[16:17]
	v_ashrrev_i32_e32 v13, 31, v12
.LBB22_37:
	s_or_b64 exec, exec, s[0:1]
	v_lshl_add_u64 v[10:11], v[12:13], 0, v[18:19]
	v_cmp_lt_i64_e32 vcc, v[10:11], v[2:3]
	v_cmp_lt_i64_e64 s[0:1], v[2:3], v[10:11]
	s_nop 0
	v_cndmask_b32_e32 v12, v2, v10, vcc
	v_cndmask_b32_e32 v13, v3, v11, vcc
	v_sub_co_u32_e32 v14, vcc, v16, v12
	s_nop 1
	v_subb_co_u32_e32 v15, vcc, v17, v13, vcc
	v_lshl_add_u64 v[12:13], v[12:13], 0, 1
	v_cmp_eq_u64_e32 vcc, v[14:15], v[12:13]
	s_and_b64 s[0:1], vcc, s[0:1]
	v_cndmask_b32_e64 v10, 0, 1, s[0:1]
	s_mov_b32 s0, 0
	v_mov_b32_e32 v11, s0
	v_lshl_add_u64 v[2:3], v[14:15], 0, v[8:9]
.LBB22_38:
	s_or_b64 exec, exec, s[14:15]
	v_lshl_add_u64 v[8:9], v[4:5], 4, s[8:9]
	v_lshl_add_u64 v[4:5], v[10:11], 0, v[6:7]
	v_sub_co_u32_e32 v4, vcc, v4, v2
	s_nop 1
	v_subb_co_u32_e32 v5, vcc, v5, v3, vcc
	global_store_dwordx4 v[8:9], v[2:5], off
.LBB22_39:
	s_or_b64 exec, exec, s[2:3]
	s_cbranch_execnz .LBB22_2
.LBB22_40:
	v_add_u32_e32 v2, s18, v0
	s_movk_i32 s0, 0xfff
	s_waitcnt vmcnt(1)
	v_mad_u64_u32 v[0:1], s[0:1], v2, s0, 0
	s_add_u32 s0, s6, s4
	s_addc_u32 s1, s7, s5
	v_mov_b32_e32 v4, s1
	v_cmp_lt_i64_e32 vcc, s[0:1], v[0:1]
	v_mov_b32_e32 v6, s5
	v_mov_b32_e32 v3, 0
	v_cndmask_b32_e32 v5, v1, v4, vcc
	v_mov_b32_e32 v1, s0
	v_cndmask_b32_e32 v4, v0, v1, vcc
	v_mov_b32_e32 v1, s7
	v_subrev_co_u32_e32 v0, vcc, s6, v4
	s_mov_b64 s[0:1], 0
	s_nop 0
	v_subb_co_u32_e32 v1, vcc, v5, v1, vcc
	v_cmp_lt_i64_e32 vcc, 0, v[0:1]
	s_nop 1
	v_cndmask_b32_e32 v1, 0, v1, vcc
	v_cndmask_b32_e32 v0, 0, v0, vcc
	v_cmp_lt_i64_e32 vcc, s[4:5], v[4:5]
	s_nop 1
	v_cndmask_b32_e32 v7, v5, v6, vcc
	v_mov_b32_e32 v6, s4
	v_cndmask_b32_e32 v6, v4, v6, vcc
	v_cmp_lt_i64_e32 vcc, v[0:1], v[6:7]
	s_and_saveexec_b64 s[2:3], vcc
	s_cbranch_execz .LBB22_44
; %bb.41:
	v_lshl_add_u64 v[8:9], v[4:5], 2, s[12:13]
.LBB22_42:                              ; =>This Inner Loop Header: Depth=1
	v_lshl_add_u64 v[10:11], v[6:7], 0, v[0:1]
	v_lshrrev_b64 v[10:11], 1, v[10:11]
	v_lshlrev_b64 v[12:13], 2, v[10:11]
	v_lshl_add_u64 v[14:15], s[10:11], 0, v[12:13]
	v_xor_b32_e32 v13, -1, v13
	v_xor_b32_e32 v12, -4, v12
	v_lshl_add_u64 v[12:13], v[8:9], 0, v[12:13]
	global_load_dword v14, v[14:15], off
	s_nop 0
	global_load_dword v15, v[12:13], off
	v_lshl_add_u64 v[12:13], v[10:11], 0, 1
	s_waitcnt vmcnt(0)
	v_cmp_lt_i32_e32 vcc, v15, v14
	s_nop 1
	v_cndmask_b32_e32 v7, v7, v11, vcc
	v_cndmask_b32_e32 v6, v6, v10, vcc
	v_cndmask_b32_e32 v1, v13, v1, vcc
	v_cndmask_b32_e32 v0, v12, v0, vcc
	v_cmp_ge_i64_e32 vcc, v[0:1], v[6:7]
	s_or_b64 s[0:1], vcc, s[0:1]
	s_andn2_b64 exec, exec, s[0:1]
	s_cbranch_execnz .LBB22_42
; %bb.43:
	s_or_b64 exec, exec, s[0:1]
.LBB22_44:
	s_or_b64 exec, exec, s[2:3]
	v_sub_co_u32_e32 v10, vcc, v4, v0
	v_mov_b64_e32 v[8:9], 0
	s_nop 0
	v_subb_co_u32_e32 v11, vcc, v5, v1, vcc
	v_cmp_gt_i64_e32 vcc, s[6:7], v[10:11]
	s_and_saveexec_b64 s[2:3], vcc
	s_cbranch_execz .LBB22_74
; %bb.45:
	v_lshl_add_u64 v[8:9], v[10:11], 2, s[12:13]
	global_load_dword v18, v[8:9], off
	v_mov_b64_e32 v[6:7], 0
	v_cmp_lt_i64_e32 vcc, 0, v[0:1]
	v_mov_b64_e32 v[12:13], 0
	s_and_saveexec_b64 s[0:1], vcc
	s_cbranch_execnz .LBB22_50
; %bb.46:
	s_or_b64 exec, exec, s[0:1]
	v_cmp_lt_u64_e32 vcc, v[6:7], v[12:13]
	s_and_saveexec_b64 s[0:1], vcc
	s_cbranch_execnz .LBB22_51
.LBB22_47:
	s_or_b64 exec, exec, s[0:1]
	v_cmp_lt_u64_e32 vcc, v[6:7], v[12:13]
	s_and_saveexec_b64 s[0:1], vcc
	s_cbranch_execnz .LBB22_52
.LBB22_48:
	s_or_b64 exec, exec, s[0:1]
	v_cmp_lt_u64_e32 vcc, v[6:7], v[12:13]
	s_and_saveexec_b64 s[0:1], vcc
	s_cbranch_execnz .LBB22_53
.LBB22_49:
	s_or_b64 exec, exec, s[0:1]
	v_cmp_lt_u64_e32 vcc, v[6:7], v[12:13]
	s_and_saveexec_b64 s[0:1], vcc
	s_cbranch_execnz .LBB22_54
	s_branch .LBB22_57
.LBB22_50:
	s_movk_i32 s14, 0x1ff
	v_mad_u64_u32 v[6:7], s[4:5], v0, s14, 0
	v_mov_b32_e32 v12, v7
	v_mad_u64_u32 v[12:13], s[4:5], v1, s14, v[12:13]
	v_mov_b32_e32 v7, v12
	v_lshrrev_b64 v[12:13], 9, v[6:7]
	v_lshl_add_u64 v[6:7], v[12:13], 2, s[10:11]
	global_load_dword v14, v[6:7], off
	v_lshl_add_u64 v[6:7], v[12:13], 0, 1
	s_waitcnt vmcnt(0)
	v_cmp_lt_i32_e32 vcc, v14, v18
	s_nop 1
	v_cndmask_b32_e32 v7, 0, v7, vcc
	v_cndmask_b32_e32 v6, 0, v6, vcc
	;; [unrolled: 1-line block ×4, first 2 shown]
	s_or_b64 exec, exec, s[0:1]
	v_cmp_lt_u64_e32 vcc, v[6:7], v[12:13]
	s_and_saveexec_b64 s[0:1], vcc
	s_cbranch_execz .LBB22_47
.LBB22_51:
	s_movk_i32 s14, 0x7f
	v_mad_u64_u32 v[14:15], s[4:5], v12, s14, v[6:7]
	v_mov_b32_e32 v16, v15
	v_mad_u64_u32 v[16:17], s[4:5], v13, s14, v[16:17]
	v_mov_b32_e32 v15, v16
	v_lshrrev_b64 v[14:15], 7, v[14:15]
	v_lshl_add_u64 v[16:17], v[14:15], 2, s[10:11]
	global_load_dword v19, v[16:17], off
	v_lshl_add_u64 v[16:17], v[14:15], 0, 1
	s_waitcnt vmcnt(0)
	v_cmp_lt_i32_e32 vcc, v19, v18
	s_nop 1
	v_cndmask_b32_e32 v7, v7, v17, vcc
	v_cndmask_b32_e32 v6, v6, v16, vcc
	;; [unrolled: 1-line block ×4, first 2 shown]
	s_or_b64 exec, exec, s[0:1]
	v_cmp_lt_u64_e32 vcc, v[6:7], v[12:13]
	s_and_saveexec_b64 s[0:1], vcc
	s_cbranch_execz .LBB22_48
.LBB22_52:
	v_mad_u64_u32 v[14:15], s[4:5], v12, 31, v[6:7]
	v_mov_b32_e32 v16, v15
	v_mad_u64_u32 v[16:17], s[4:5], v13, 31, v[16:17]
	v_mov_b32_e32 v15, v16
	v_lshrrev_b64 v[14:15], 5, v[14:15]
	v_lshl_add_u64 v[16:17], v[14:15], 2, s[10:11]
	global_load_dword v19, v[16:17], off
	v_lshl_add_u64 v[16:17], v[14:15], 0, 1
	s_waitcnt vmcnt(0)
	v_cmp_lt_i32_e32 vcc, v19, v18
	s_nop 1
	v_cndmask_b32_e32 v7, v7, v17, vcc
	v_cndmask_b32_e32 v6, v6, v16, vcc
	;; [unrolled: 1-line block ×4, first 2 shown]
	s_or_b64 exec, exec, s[0:1]
	v_cmp_lt_u64_e32 vcc, v[6:7], v[12:13]
	s_and_saveexec_b64 s[0:1], vcc
	s_cbranch_execz .LBB22_49
.LBB22_53:
	v_mad_u64_u32 v[14:15], s[4:5], v12, 15, v[6:7]
	v_mov_b32_e32 v16, v15
	v_mad_u64_u32 v[16:17], s[4:5], v13, 15, v[16:17]
	v_mov_b32_e32 v15, v16
	v_lshrrev_b64 v[14:15], 4, v[14:15]
	v_lshl_add_u64 v[16:17], v[14:15], 2, s[10:11]
	global_load_dword v19, v[16:17], off
	v_lshl_add_u64 v[16:17], v[14:15], 0, 1
	s_waitcnt vmcnt(0)
	v_cmp_lt_i32_e32 vcc, v19, v18
	s_nop 1
	v_cndmask_b32_e32 v7, v7, v17, vcc
	v_cndmask_b32_e32 v6, v6, v16, vcc
	;; [unrolled: 1-line block ×4, first 2 shown]
	s_or_b64 exec, exec, s[0:1]
	v_cmp_lt_u64_e32 vcc, v[6:7], v[12:13]
	s_and_saveexec_b64 s[0:1], vcc
	s_cbranch_execz .LBB22_57
.LBB22_54:
	s_mov_b64 s[4:5], 0
.LBB22_55:                              ; =>This Inner Loop Header: Depth=1
	v_lshl_add_u64 v[14:15], v[6:7], 0, v[12:13]
	v_lshrrev_b64 v[14:15], 1, v[14:15]
	v_lshl_add_u64 v[16:17], v[14:15], 2, s[10:11]
	global_load_dword v19, v[16:17], off
	v_lshl_add_u64 v[16:17], v[14:15], 0, 1
	s_waitcnt vmcnt(0)
	v_cmp_lt_i32_e32 vcc, v19, v18
	s_nop 1
	v_cndmask_b32_e32 v7, v7, v17, vcc
	v_cndmask_b32_e32 v6, v6, v16, vcc
	;; [unrolled: 1-line block ×4, first 2 shown]
	v_cmp_ge_i64_e32 vcc, v[6:7], v[12:13]
	s_or_b64 s[4:5], vcc, s[4:5]
	s_andn2_b64 exec, exec, s[4:5]
	s_cbranch_execnz .LBB22_55
; %bb.56:
	s_or_b64 exec, exec, s[4:5]
.LBB22_57:
	s_or_b64 exec, exec, s[0:1]
	v_mov_b64_e32 v[12:13], 0
	v_cmp_lt_i64_e32 vcc, 0, v[10:11]
	v_mov_b64_e32 v[14:15], v[10:11]
	s_and_saveexec_b64 s[0:1], vcc
	s_cbranch_execnz .LBB22_62
; %bb.58:
	s_or_b64 exec, exec, s[0:1]
	v_cmp_lt_i64_e32 vcc, v[12:13], v[14:15]
	s_and_saveexec_b64 s[0:1], vcc
	s_cbranch_execnz .LBB22_63
.LBB22_59:
	s_or_b64 exec, exec, s[0:1]
	v_cmp_lt_i64_e32 vcc, v[12:13], v[14:15]
	s_and_saveexec_b64 s[0:1], vcc
	s_cbranch_execnz .LBB22_64
.LBB22_60:
	s_or_b64 exec, exec, s[0:1]
	v_cmp_lt_i64_e32 vcc, v[12:13], v[14:15]
	s_and_saveexec_b64 s[0:1], vcc
	s_cbranch_execnz .LBB22_65
.LBB22_61:
	s_or_b64 exec, exec, s[0:1]
	v_cmp_lt_i64_e32 vcc, v[12:13], v[14:15]
	s_and_saveexec_b64 s[0:1], vcc
	s_cbranch_execnz .LBB22_66
	s_branch .LBB22_69
.LBB22_62:
	s_movk_i32 s10, 0x1ff
	v_mad_u64_u32 v[12:13], s[4:5], v10, s10, 0
	v_mov_b32_e32 v14, v13
	v_mad_u64_u32 v[14:15], s[4:5], v11, s10, v[14:15]
	v_mov_b32_e32 v13, v14
	v_lshrrev_b64 v[14:15], 9, v[12:13]
	v_lshl_add_u64 v[12:13], v[14:15], 2, s[12:13]
	global_load_dword v16, v[12:13], off
	v_lshl_add_u64 v[12:13], v[14:15], 0, 1
	s_waitcnt vmcnt(0)
	v_cmp_lt_i32_e32 vcc, v16, v18
	s_nop 1
	v_cndmask_b32_e32 v13, 0, v13, vcc
	v_cndmask_b32_e32 v12, 0, v12, vcc
	;; [unrolled: 1-line block ×4, first 2 shown]
	s_or_b64 exec, exec, s[0:1]
	v_cmp_lt_i64_e32 vcc, v[12:13], v[14:15]
	s_and_saveexec_b64 s[0:1], vcc
	s_cbranch_execz .LBB22_59
.LBB22_63:
	s_movk_i32 s10, 0x7f
	v_mad_u64_u32 v[16:17], s[4:5], v14, s10, v[12:13]
	v_mov_b32_e32 v20, v17
	v_mad_u64_u32 v[20:21], s[4:5], v15, s10, v[20:21]
	v_mov_b32_e32 v17, v20
	v_lshrrev_b64 v[16:17], 7, v[16:17]
	v_lshl_add_u64 v[20:21], v[16:17], 2, s[12:13]
	global_load_dword v19, v[20:21], off
	v_lshl_add_u64 v[20:21], v[16:17], 0, 1
	s_waitcnt vmcnt(0)
	v_cmp_lt_i32_e32 vcc, v19, v18
	s_nop 1
	v_cndmask_b32_e32 v13, v13, v21, vcc
	v_cndmask_b32_e32 v12, v12, v20, vcc
	;; [unrolled: 1-line block ×4, first 2 shown]
	s_or_b64 exec, exec, s[0:1]
	v_cmp_lt_i64_e32 vcc, v[12:13], v[14:15]
	s_and_saveexec_b64 s[0:1], vcc
	s_cbranch_execz .LBB22_60
.LBB22_64:
	v_mad_u64_u32 v[16:17], s[4:5], v14, 31, v[12:13]
	v_mov_b32_e32 v20, v17
	v_mad_u64_u32 v[20:21], s[4:5], v15, 31, v[20:21]
	v_mov_b32_e32 v17, v20
	v_lshrrev_b64 v[16:17], 5, v[16:17]
	v_lshl_add_u64 v[20:21], v[16:17], 2, s[12:13]
	global_load_dword v19, v[20:21], off
	v_lshl_add_u64 v[20:21], v[16:17], 0, 1
	s_waitcnt vmcnt(0)
	v_cmp_lt_i32_e32 vcc, v19, v18
	s_nop 1
	v_cndmask_b32_e32 v13, v13, v21, vcc
	v_cndmask_b32_e32 v12, v12, v20, vcc
	;; [unrolled: 1-line block ×4, first 2 shown]
	s_or_b64 exec, exec, s[0:1]
	v_cmp_lt_i64_e32 vcc, v[12:13], v[14:15]
	s_and_saveexec_b64 s[0:1], vcc
	s_cbranch_execz .LBB22_61
.LBB22_65:
	v_mad_u64_u32 v[16:17], s[4:5], v14, 15, v[12:13]
	v_mov_b32_e32 v20, v17
	v_mad_u64_u32 v[20:21], s[4:5], v15, 15, v[20:21]
	v_mov_b32_e32 v17, v20
	v_lshrrev_b64 v[16:17], 4, v[16:17]
	v_lshl_add_u64 v[20:21], v[16:17], 2, s[12:13]
	global_load_dword v19, v[20:21], off
	v_lshl_add_u64 v[20:21], v[16:17], 0, 1
	s_waitcnt vmcnt(0)
	v_cmp_lt_i32_e32 vcc, v19, v18
	s_nop 1
	v_cndmask_b32_e32 v13, v13, v21, vcc
	v_cndmask_b32_e32 v12, v12, v20, vcc
	;; [unrolled: 1-line block ×4, first 2 shown]
	s_or_b64 exec, exec, s[0:1]
	v_cmp_lt_i64_e32 vcc, v[12:13], v[14:15]
	s_and_saveexec_b64 s[0:1], vcc
	s_cbranch_execz .LBB22_69
.LBB22_66:
	s_mov_b64 s[4:5], 0
.LBB22_67:                              ; =>This Inner Loop Header: Depth=1
	v_lshl_add_u64 v[16:17], v[12:13], 0, v[14:15]
	v_lshrrev_b64 v[16:17], 1, v[16:17]
	v_lshl_add_u64 v[20:21], v[16:17], 2, s[12:13]
	global_load_dword v19, v[20:21], off
	v_lshl_add_u64 v[20:21], v[16:17], 0, 1
	s_waitcnt vmcnt(0)
	v_cmp_lt_i32_e32 vcc, v19, v18
	s_nop 1
	v_cndmask_b32_e32 v13, v13, v21, vcc
	v_cndmask_b32_e32 v12, v12, v20, vcc
	;; [unrolled: 1-line block ×4, first 2 shown]
	v_cmp_ge_i64_e32 vcc, v[12:13], v[14:15]
	s_or_b64 s[4:5], vcc, s[4:5]
	s_andn2_b64 exec, exec, s[4:5]
	s_cbranch_execnz .LBB22_67
; %bb.68:
	s_or_b64 exec, exec, s[4:5]
.LBB22_69:
	s_or_b64 exec, exec, s[0:1]
	v_sub_co_u32_e32 v0, vcc, v0, v6
	v_mov_b32_e32 v19, s7
	s_nop 0
	v_subb_co_u32_e32 v1, vcc, v1, v7, vcc
	v_sub_co_u32_e32 v16, vcc, v10, v12
	s_nop 1
	v_subb_co_u32_e32 v17, vcc, v11, v13, vcc
	v_lshl_add_u64 v[14:15], v[16:17], 0, v[0:1]
	v_ashrrev_i64 v[0:1], 1, v[14:15]
	v_cmp_gt_i64_e32 vcc, v[0:1], v[16:17]
	s_nop 1
	v_cndmask_b32_e32 v1, v17, v1, vcc
	v_cndmask_b32_e32 v0, v16, v0, vcc
	v_lshl_add_u64 v[12:13], v[12:13], 0, v[0:1]
	v_lshl_add_u64 v[12:13], v[12:13], 0, 1
	v_cmp_gt_i64_e32 vcc, s[6:7], v[12:13]
	s_nop 1
	v_cndmask_b32_e32 v13, v19, v13, vcc
	v_mov_b32_e32 v19, s6
	v_cndmask_b32_e32 v12, v19, v12, vcc
	v_sub_co_u32_e32 v12, vcc, v12, v10
	s_nop 1
	v_subb_co_u32_e32 v13, vcc, v13, v11, vcc
	v_mov_b64_e32 v[10:11], 0
	v_cmp_lt_i64_e32 vcc, 0, v[12:13]
	s_and_saveexec_b64 s[0:1], vcc
	s_cbranch_execz .LBB22_73
; %bb.70:
	s_mov_b64 s[4:5], 0
	v_mov_b64_e32 v[10:11], 0
.LBB22_71:                              ; =>This Inner Loop Header: Depth=1
	v_lshl_add_u64 v[20:21], v[10:11], 0, v[12:13]
	v_lshrrev_b64 v[20:21], 1, v[20:21]
	v_lshl_add_u64 v[22:23], v[20:21], 2, v[8:9]
	global_load_dword v19, v[22:23], off
	v_lshl_add_u64 v[22:23], v[20:21], 0, 1
	s_waitcnt vmcnt(0)
	v_cmp_lt_i32_e32 vcc, v18, v19
	s_nop 1
	v_cndmask_b32_e32 v11, v23, v11, vcc
	v_cndmask_b32_e32 v10, v22, v10, vcc
	;; [unrolled: 1-line block ×4, first 2 shown]
	v_cmp_ge_i64_e32 vcc, v[10:11], v[12:13]
	s_or_b64 s[4:5], vcc, s[4:5]
	s_andn2_b64 exec, exec, s[4:5]
	s_cbranch_execnz .LBB22_71
; %bb.72:
	s_or_b64 exec, exec, s[4:5]
	v_ashrrev_i32_e32 v11, 31, v10
.LBB22_73:
	s_or_b64 exec, exec, s[0:1]
	v_lshl_add_u64 v[8:9], v[10:11], 0, v[16:17]
	v_cmp_lt_i64_e32 vcc, v[8:9], v[0:1]
	v_cmp_lt_i64_e64 s[0:1], v[0:1], v[8:9]
	s_nop 0
	v_cndmask_b32_e32 v10, v0, v8, vcc
	v_cndmask_b32_e32 v11, v1, v9, vcc
	v_sub_co_u32_e32 v12, vcc, v14, v10
	s_nop 1
	v_subb_co_u32_e32 v13, vcc, v15, v11, vcc
	v_lshl_add_u64 v[10:11], v[10:11], 0, 1
	v_cmp_eq_u64_e32 vcc, v[12:13], v[10:11]
	s_and_b64 s[0:1], vcc, s[0:1]
	v_cndmask_b32_e64 v8, 0, 1, s[0:1]
	s_mov_b32 s0, 0
	v_mov_b32_e32 v9, s0
	v_lshl_add_u64 v[0:1], v[12:13], 0, v[6:7]
.LBB22_74:
	s_or_b64 exec, exec, s[2:3]
	v_lshl_add_u64 v[6:7], v[2:3], 4, s[8:9]
	v_lshl_add_u64 v[2:3], v[8:9], 0, v[4:5]
	v_sub_co_u32_e32 v2, vcc, v2, v0
	s_nop 1
	v_subb_co_u32_e32 v3, vcc, v3, v1, vcc
	global_store_dwordx4 v[6:7], v[0:3], off
	s_endpgm
	.section	.rodata,"a",@progbits
	.p2align	6, 0x0
	.amdhsa_kernel _ZN6thrust23THRUST_200600_302600_NS11hip_rocprim14__parallel_for6kernelILj256EZNS1_16__set_operations9doit_stepILb0ENS0_6detail15normal_iteratorINS0_10device_ptrIKiEEEESB_PiSC_lNS7_INS8_IiEEEESC_NS0_4lessIiEENS4_23serial_set_intersectionEEE10hipError_tPvRmT0_T1_T2_T3_T4_SP_T5_T6_PSP_T7_T8_P12ihipStream_tbEUllE_jLj1EEEvSL_SM_SM_
		.amdhsa_group_segment_fixed_size 0
		.amdhsa_private_segment_fixed_size 0
		.amdhsa_kernarg_size 56
		.amdhsa_user_sgpr_count 2
		.amdhsa_user_sgpr_dispatch_ptr 0
		.amdhsa_user_sgpr_queue_ptr 0
		.amdhsa_user_sgpr_kernarg_segment_ptr 1
		.amdhsa_user_sgpr_dispatch_id 0
		.amdhsa_user_sgpr_kernarg_preload_length 0
		.amdhsa_user_sgpr_kernarg_preload_offset 0
		.amdhsa_user_sgpr_private_segment_size 0
		.amdhsa_uses_dynamic_stack 0
		.amdhsa_enable_private_segment 0
		.amdhsa_system_sgpr_workgroup_id_x 1
		.amdhsa_system_sgpr_workgroup_id_y 0
		.amdhsa_system_sgpr_workgroup_id_z 0
		.amdhsa_system_sgpr_workgroup_info 0
		.amdhsa_system_vgpr_workitem_id 0
		.amdhsa_next_free_vgpr 25
		.amdhsa_next_free_sgpr 20
		.amdhsa_accum_offset 28
		.amdhsa_reserve_vcc 1
		.amdhsa_float_round_mode_32 0
		.amdhsa_float_round_mode_16_64 0
		.amdhsa_float_denorm_mode_32 3
		.amdhsa_float_denorm_mode_16_64 3
		.amdhsa_dx10_clamp 1
		.amdhsa_ieee_mode 1
		.amdhsa_fp16_overflow 0
		.amdhsa_tg_split 0
		.amdhsa_exception_fp_ieee_invalid_op 0
		.amdhsa_exception_fp_denorm_src 0
		.amdhsa_exception_fp_ieee_div_zero 0
		.amdhsa_exception_fp_ieee_overflow 0
		.amdhsa_exception_fp_ieee_underflow 0
		.amdhsa_exception_fp_ieee_inexact 0
		.amdhsa_exception_int_div_zero 0
	.end_amdhsa_kernel
	.section	.text._ZN6thrust23THRUST_200600_302600_NS11hip_rocprim14__parallel_for6kernelILj256EZNS1_16__set_operations9doit_stepILb0ENS0_6detail15normal_iteratorINS0_10device_ptrIKiEEEESB_PiSC_lNS7_INS8_IiEEEESC_NS0_4lessIiEENS4_23serial_set_intersectionEEE10hipError_tPvRmT0_T1_T2_T3_T4_SP_T5_T6_PSP_T7_T8_P12ihipStream_tbEUllE_jLj1EEEvSL_SM_SM_,"axG",@progbits,_ZN6thrust23THRUST_200600_302600_NS11hip_rocprim14__parallel_for6kernelILj256EZNS1_16__set_operations9doit_stepILb0ENS0_6detail15normal_iteratorINS0_10device_ptrIKiEEEESB_PiSC_lNS7_INS8_IiEEEESC_NS0_4lessIiEENS4_23serial_set_intersectionEEE10hipError_tPvRmT0_T1_T2_T3_T4_SP_T5_T6_PSP_T7_T8_P12ihipStream_tbEUllE_jLj1EEEvSL_SM_SM_,comdat
.Lfunc_end22:
	.size	_ZN6thrust23THRUST_200600_302600_NS11hip_rocprim14__parallel_for6kernelILj256EZNS1_16__set_operations9doit_stepILb0ENS0_6detail15normal_iteratorINS0_10device_ptrIKiEEEESB_PiSC_lNS7_INS8_IiEEEESC_NS0_4lessIiEENS4_23serial_set_intersectionEEE10hipError_tPvRmT0_T1_T2_T3_T4_SP_T5_T6_PSP_T7_T8_P12ihipStream_tbEUllE_jLj1EEEvSL_SM_SM_, .Lfunc_end22-_ZN6thrust23THRUST_200600_302600_NS11hip_rocprim14__parallel_for6kernelILj256EZNS1_16__set_operations9doit_stepILb0ENS0_6detail15normal_iteratorINS0_10device_ptrIKiEEEESB_PiSC_lNS7_INS8_IiEEEESC_NS0_4lessIiEENS4_23serial_set_intersectionEEE10hipError_tPvRmT0_T1_T2_T3_T4_SP_T5_T6_PSP_T7_T8_P12ihipStream_tbEUllE_jLj1EEEvSL_SM_SM_
                                        ; -- End function
	.set _ZN6thrust23THRUST_200600_302600_NS11hip_rocprim14__parallel_for6kernelILj256EZNS1_16__set_operations9doit_stepILb0ENS0_6detail15normal_iteratorINS0_10device_ptrIKiEEEESB_PiSC_lNS7_INS8_IiEEEESC_NS0_4lessIiEENS4_23serial_set_intersectionEEE10hipError_tPvRmT0_T1_T2_T3_T4_SP_T5_T6_PSP_T7_T8_P12ihipStream_tbEUllE_jLj1EEEvSL_SM_SM_.num_vgpr, 25
	.set _ZN6thrust23THRUST_200600_302600_NS11hip_rocprim14__parallel_for6kernelILj256EZNS1_16__set_operations9doit_stepILb0ENS0_6detail15normal_iteratorINS0_10device_ptrIKiEEEESB_PiSC_lNS7_INS8_IiEEEESC_NS0_4lessIiEENS4_23serial_set_intersectionEEE10hipError_tPvRmT0_T1_T2_T3_T4_SP_T5_T6_PSP_T7_T8_P12ihipStream_tbEUllE_jLj1EEEvSL_SM_SM_.num_agpr, 0
	.set _ZN6thrust23THRUST_200600_302600_NS11hip_rocprim14__parallel_for6kernelILj256EZNS1_16__set_operations9doit_stepILb0ENS0_6detail15normal_iteratorINS0_10device_ptrIKiEEEESB_PiSC_lNS7_INS8_IiEEEESC_NS0_4lessIiEENS4_23serial_set_intersectionEEE10hipError_tPvRmT0_T1_T2_T3_T4_SP_T5_T6_PSP_T7_T8_P12ihipStream_tbEUllE_jLj1EEEvSL_SM_SM_.numbered_sgpr, 20
	.set _ZN6thrust23THRUST_200600_302600_NS11hip_rocprim14__parallel_for6kernelILj256EZNS1_16__set_operations9doit_stepILb0ENS0_6detail15normal_iteratorINS0_10device_ptrIKiEEEESB_PiSC_lNS7_INS8_IiEEEESC_NS0_4lessIiEENS4_23serial_set_intersectionEEE10hipError_tPvRmT0_T1_T2_T3_T4_SP_T5_T6_PSP_T7_T8_P12ihipStream_tbEUllE_jLj1EEEvSL_SM_SM_.num_named_barrier, 0
	.set _ZN6thrust23THRUST_200600_302600_NS11hip_rocprim14__parallel_for6kernelILj256EZNS1_16__set_operations9doit_stepILb0ENS0_6detail15normal_iteratorINS0_10device_ptrIKiEEEESB_PiSC_lNS7_INS8_IiEEEESC_NS0_4lessIiEENS4_23serial_set_intersectionEEE10hipError_tPvRmT0_T1_T2_T3_T4_SP_T5_T6_PSP_T7_T8_P12ihipStream_tbEUllE_jLj1EEEvSL_SM_SM_.private_seg_size, 0
	.set _ZN6thrust23THRUST_200600_302600_NS11hip_rocprim14__parallel_for6kernelILj256EZNS1_16__set_operations9doit_stepILb0ENS0_6detail15normal_iteratorINS0_10device_ptrIKiEEEESB_PiSC_lNS7_INS8_IiEEEESC_NS0_4lessIiEENS4_23serial_set_intersectionEEE10hipError_tPvRmT0_T1_T2_T3_T4_SP_T5_T6_PSP_T7_T8_P12ihipStream_tbEUllE_jLj1EEEvSL_SM_SM_.uses_vcc, 1
	.set _ZN6thrust23THRUST_200600_302600_NS11hip_rocprim14__parallel_for6kernelILj256EZNS1_16__set_operations9doit_stepILb0ENS0_6detail15normal_iteratorINS0_10device_ptrIKiEEEESB_PiSC_lNS7_INS8_IiEEEESC_NS0_4lessIiEENS4_23serial_set_intersectionEEE10hipError_tPvRmT0_T1_T2_T3_T4_SP_T5_T6_PSP_T7_T8_P12ihipStream_tbEUllE_jLj1EEEvSL_SM_SM_.uses_flat_scratch, 0
	.set _ZN6thrust23THRUST_200600_302600_NS11hip_rocprim14__parallel_for6kernelILj256EZNS1_16__set_operations9doit_stepILb0ENS0_6detail15normal_iteratorINS0_10device_ptrIKiEEEESB_PiSC_lNS7_INS8_IiEEEESC_NS0_4lessIiEENS4_23serial_set_intersectionEEE10hipError_tPvRmT0_T1_T2_T3_T4_SP_T5_T6_PSP_T7_T8_P12ihipStream_tbEUllE_jLj1EEEvSL_SM_SM_.has_dyn_sized_stack, 0
	.set _ZN6thrust23THRUST_200600_302600_NS11hip_rocprim14__parallel_for6kernelILj256EZNS1_16__set_operations9doit_stepILb0ENS0_6detail15normal_iteratorINS0_10device_ptrIKiEEEESB_PiSC_lNS7_INS8_IiEEEESC_NS0_4lessIiEENS4_23serial_set_intersectionEEE10hipError_tPvRmT0_T1_T2_T3_T4_SP_T5_T6_PSP_T7_T8_P12ihipStream_tbEUllE_jLj1EEEvSL_SM_SM_.has_recursion, 0
	.set _ZN6thrust23THRUST_200600_302600_NS11hip_rocprim14__parallel_for6kernelILj256EZNS1_16__set_operations9doit_stepILb0ENS0_6detail15normal_iteratorINS0_10device_ptrIKiEEEESB_PiSC_lNS7_INS8_IiEEEESC_NS0_4lessIiEENS4_23serial_set_intersectionEEE10hipError_tPvRmT0_T1_T2_T3_T4_SP_T5_T6_PSP_T7_T8_P12ihipStream_tbEUllE_jLj1EEEvSL_SM_SM_.has_indirect_call, 0
	.section	.AMDGPU.csdata,"",@progbits
; Kernel info:
; codeLenInByte = 3768
; TotalNumSgprs: 26
; NumVgprs: 25
; NumAgprs: 0
; TotalNumVgprs: 25
; ScratchSize: 0
; MemoryBound: 0
; FloatMode: 240
; IeeeMode: 1
; LDSByteSize: 0 bytes/workgroup (compile time only)
; SGPRBlocks: 3
; VGPRBlocks: 3
; NumSGPRsForWavesPerEU: 26
; NumVGPRsForWavesPerEU: 25
; AccumOffset: 28
; Occupancy: 8
; WaveLimiterHint : 0
; COMPUTE_PGM_RSRC2:SCRATCH_EN: 0
; COMPUTE_PGM_RSRC2:USER_SGPR: 2
; COMPUTE_PGM_RSRC2:TRAP_HANDLER: 0
; COMPUTE_PGM_RSRC2:TGID_X_EN: 1
; COMPUTE_PGM_RSRC2:TGID_Y_EN: 0
; COMPUTE_PGM_RSRC2:TGID_Z_EN: 0
; COMPUTE_PGM_RSRC2:TIDIG_COMP_CNT: 0
; COMPUTE_PGM_RSRC3_GFX90A:ACCUM_OFFSET: 6
; COMPUTE_PGM_RSRC3_GFX90A:TG_SPLIT: 0
	.section	.text._ZN6thrust23THRUST_200600_302600_NS11hip_rocprim16__set_operations22lookback_set_op_kernelIN7rocprim17ROCPRIM_400000_NS13kernel_configILj256ELj16ELj4294967295EEELb0ENS0_6detail15normal_iteratorINS0_10device_ptrIKiEEEESD_PiSE_lNS9_INSA_IiEEEESE_NS0_4lessIiEENS2_23serial_set_intersectionENS5_6detail19lookback_scan_stateIlLb0ELb1EEEEEvT1_T2_T3_T4_T6_T7_T8_T9_PNS0_4pairIT5_SW_EEPSW_T10_NSK_16ordered_block_idIjEE,"axG",@progbits,_ZN6thrust23THRUST_200600_302600_NS11hip_rocprim16__set_operations22lookback_set_op_kernelIN7rocprim17ROCPRIM_400000_NS13kernel_configILj256ELj16ELj4294967295EEELb0ENS0_6detail15normal_iteratorINS0_10device_ptrIKiEEEESD_PiSE_lNS9_INSA_IiEEEESE_NS0_4lessIiEENS2_23serial_set_intersectionENS5_6detail19lookback_scan_stateIlLb0ELb1EEEEEvT1_T2_T3_T4_T6_T7_T8_T9_PNS0_4pairIT5_SW_EEPSW_T10_NSK_16ordered_block_idIjEE,comdat
	.protected	_ZN6thrust23THRUST_200600_302600_NS11hip_rocprim16__set_operations22lookback_set_op_kernelIN7rocprim17ROCPRIM_400000_NS13kernel_configILj256ELj16ELj4294967295EEELb0ENS0_6detail15normal_iteratorINS0_10device_ptrIKiEEEESD_PiSE_lNS9_INSA_IiEEEESE_NS0_4lessIiEENS2_23serial_set_intersectionENS5_6detail19lookback_scan_stateIlLb0ELb1EEEEEvT1_T2_T3_T4_T6_T7_T8_T9_PNS0_4pairIT5_SW_EEPSW_T10_NSK_16ordered_block_idIjEE ; -- Begin function _ZN6thrust23THRUST_200600_302600_NS11hip_rocprim16__set_operations22lookback_set_op_kernelIN7rocprim17ROCPRIM_400000_NS13kernel_configILj256ELj16ELj4294967295EEELb0ENS0_6detail15normal_iteratorINS0_10device_ptrIKiEEEESD_PiSE_lNS9_INSA_IiEEEESE_NS0_4lessIiEENS2_23serial_set_intersectionENS5_6detail19lookback_scan_stateIlLb0ELb1EEEEEvT1_T2_T3_T4_T6_T7_T8_T9_PNS0_4pairIT5_SW_EEPSW_T10_NSK_16ordered_block_idIjEE
	.globl	_ZN6thrust23THRUST_200600_302600_NS11hip_rocprim16__set_operations22lookback_set_op_kernelIN7rocprim17ROCPRIM_400000_NS13kernel_configILj256ELj16ELj4294967295EEELb0ENS0_6detail15normal_iteratorINS0_10device_ptrIKiEEEESD_PiSE_lNS9_INSA_IiEEEESE_NS0_4lessIiEENS2_23serial_set_intersectionENS5_6detail19lookback_scan_stateIlLb0ELb1EEEEEvT1_T2_T3_T4_T6_T7_T8_T9_PNS0_4pairIT5_SW_EEPSW_T10_NSK_16ordered_block_idIjEE
	.p2align	8
	.type	_ZN6thrust23THRUST_200600_302600_NS11hip_rocprim16__set_operations22lookback_set_op_kernelIN7rocprim17ROCPRIM_400000_NS13kernel_configILj256ELj16ELj4294967295EEELb0ENS0_6detail15normal_iteratorINS0_10device_ptrIKiEEEESD_PiSE_lNS9_INSA_IiEEEESE_NS0_4lessIiEENS2_23serial_set_intersectionENS5_6detail19lookback_scan_stateIlLb0ELb1EEEEEvT1_T2_T3_T4_T6_T7_T8_T9_PNS0_4pairIT5_SW_EEPSW_T10_NSK_16ordered_block_idIjEE,@function
_ZN6thrust23THRUST_200600_302600_NS11hip_rocprim16__set_operations22lookback_set_op_kernelIN7rocprim17ROCPRIM_400000_NS13kernel_configILj256ELj16ELj4294967295EEELb0ENS0_6detail15normal_iteratorINS0_10device_ptrIKiEEEESD_PiSE_lNS9_INSA_IiEEEESE_NS0_4lessIiEENS2_23serial_set_intersectionENS5_6detail19lookback_scan_stateIlLb0ELb1EEEEEvT1_T2_T3_T4_T6_T7_T8_T9_PNS0_4pairIT5_SW_EEPSW_T10_NSK_16ordered_block_idIjEE: ; @_ZN6thrust23THRUST_200600_302600_NS11hip_rocprim16__set_operations22lookback_set_op_kernelIN7rocprim17ROCPRIM_400000_NS13kernel_configILj256ELj16ELj4294967295EEELb0ENS0_6detail15normal_iteratorINS0_10device_ptrIKiEEEESD_PiSE_lNS9_INSA_IiEEEESE_NS0_4lessIiEENS2_23serial_set_intersectionENS5_6detail19lookback_scan_stateIlLb0ELb1EEEEEvT1_T2_T3_T4_T6_T7_T8_T9_PNS0_4pairIT5_SW_EEPSW_T10_NSK_16ordered_block_idIjEE
; %bb.0:
	s_load_dword s2, s[0:1], 0x64
	s_load_dword s16, s[0:1], 0x58
	s_load_dwordx8 s[8:15], s[0:1], 0x38
	v_bfe_u32 v1, v0, 10, 10
	v_bfe_u32 v2, v0, 20, 10
	s_waitcnt lgkmcnt(0)
	s_lshr_b32 s3, s2, 16
	s_and_b32 s2, s2, 0xffff
	v_mad_u32_u24 v1, v2, s3, v1
	v_and_b32_e32 v16, 0x3ff, v0
	v_mul_lo_u32 v1, v1, s2
	v_sub_u32_e32 v0, 0, v16
	v_cmp_eq_u32_e32 vcc, v1, v0
	s_and_saveexec_b64 s[2:3], vcc
	s_cbranch_execz .LBB23_4
; %bb.1:
	s_mov_b64 s[6:7], exec
	v_mbcnt_lo_u32_b32 v0, s6, 0
	v_mbcnt_hi_u32_b32 v0, s7, v0
	v_cmp_eq_u32_e32 vcc, 0, v0
                                        ; implicit-def: $vgpr1
	s_and_saveexec_b64 s[4:5], vcc
	s_cbranch_execz .LBB23_3
; %bb.2:
	s_bcnt1_i32_b64 s6, s[6:7]
	v_mov_b32_e32 v1, 0
	v_mov_b32_e32 v2, s6
	global_atomic_add v1, v1, v2, s[14:15] sc0
.LBB23_3:
	s_or_b64 exec, exec, s[4:5]
	s_waitcnt vmcnt(0)
	v_readfirstlane_b32 s4, v1
	v_mov_b32_e32 v1, 0
	s_nop 0
	v_add_u32_e32 v0, s4, v0
	ds_write_b32 v1, v0 offset:36864
.LBB23_4:
	s_or_b64 exec, exec, s[2:3]
	v_mov_b32_e32 v0, 0
	s_waitcnt lgkmcnt(0)
	s_barrier
	ds_read_b32 v1, v0 offset:36864
	s_add_i32 s16, s16, -1
	s_waitcnt lgkmcnt(0)
	v_readfirstlane_b32 s14, v1
	s_ashr_i32 s15, s14, 31
	s_lshl_b64 s[2:3], s[14:15], 4
	s_add_u32 s2, s8, s2
	s_addc_u32 s3, s9, s3
	global_load_dwordx4 v[2:5], v0, s[2:3] offset:16
	global_load_dwordx4 v[6:9], v0, s[2:3]
	s_load_dwordx4 s[4:7], s[0:1], 0x0
	s_load_dwordx2 s[8:9], s[0:1], 0x20
	v_cmp_le_i32_e32 vcc, s16, v1
	s_and_b64 vcc, exec, vcc
	s_mov_b64 s[0:1], -1
	s_waitcnt vmcnt(0)
	v_sub_u32_e32 v26, v2, v6
	v_sub_u32_e32 v27, v4, v8
	v_lshlrev_b64 v[2:3], 2, v[6:7]
	v_lshlrev_b64 v[4:5], 2, v[8:9]
	s_waitcnt lgkmcnt(0)
	v_lshl_add_u64 v[20:21], s[4:5], 0, v[2:3]
	v_lshl_add_u64 v[18:19], s[6:7], 0, v[4:5]
	s_cbranch_vccz .LBB23_212
; %bb.5:
	v_add_u32_e32 v17, v27, v26
	v_cmp_lt_i32_e32 vcc, v16, v17
	v_mov_b32_e32 v1, v0
	v_mov_b32_e32 v2, v0
	;; [unrolled: 1-line block ×15, first 2 shown]
	s_and_saveexec_b64 s[0:1], vcc
	s_cbranch_execz .LBB23_7
; %bb.6:
	v_lshlrev_b32_e32 v0, 2, v16
	v_mov_b32_e32 v1, 0
	v_lshl_add_u64 v[2:3], v[20:21], 0, v[0:1]
	v_sub_u32_e32 v0, v16, v26
	v_lshl_add_u64 v[4:5], v[0:1], 2, v[18:19]
	v_cmp_lt_i32_e32 vcc, v16, v26
	v_mov_b32_e32 v6, v1
	v_mov_b32_e32 v7, v1
	v_cndmask_b32_e32 v3, v5, v3, vcc
	v_cndmask_b32_e32 v2, v4, v2, vcc
	global_load_dword v0, v[2:3], off
	v_mov_b32_e32 v2, v1
	v_mov_b32_e32 v3, v1
	;; [unrolled: 1-line block ×12, first 2 shown]
.LBB23_7:
	s_or_b64 exec, exec, s[0:1]
	v_add_u32_e32 v22, 0x100, v16
	v_cmp_lt_i32_e32 vcc, v22, v17
	s_and_saveexec_b64 s[0:1], vcc
	s_cbranch_execz .LBB23_9
; %bb.8:
	v_lshlrev_b32_e32 v24, 2, v16
	v_mov_b32_e32 v25, 0
	v_lshl_add_u64 v[28:29], v[20:21], 0, v[24:25]
	s_mov_b64 s[2:3], 0x400
	v_sub_u32_e32 v24, v22, v26
	v_lshl_add_u64 v[28:29], v[28:29], 0, s[2:3]
	v_lshl_add_u64 v[24:25], v[24:25], 2, v[18:19]
	v_cmp_lt_i32_e32 vcc, v22, v26
	s_nop 1
	v_cndmask_b32_e32 v23, v25, v29, vcc
	v_cndmask_b32_e32 v22, v24, v28, vcc
	global_load_dword v1, v[22:23], off
.LBB23_9:
	s_or_b64 exec, exec, s[0:1]
	v_add_u32_e32 v22, 0x200, v16
	v_cmp_lt_i32_e32 vcc, v22, v17
	s_and_saveexec_b64 s[0:1], vcc
	s_cbranch_execz .LBB23_11
; %bb.10:
	v_lshlrev_b32_e32 v24, 2, v16
	v_mov_b32_e32 v25, 0
	v_lshl_add_u64 v[28:29], v[20:21], 0, v[24:25]
	s_mov_b64 s[2:3], 0x800
	v_sub_u32_e32 v24, v22, v26
	v_lshl_add_u64 v[28:29], v[28:29], 0, s[2:3]
	v_lshl_add_u64 v[24:25], v[24:25], 2, v[18:19]
	v_cmp_lt_i32_e32 vcc, v22, v26
	s_nop 1
	v_cndmask_b32_e32 v23, v25, v29, vcc
	v_cndmask_b32_e32 v22, v24, v28, vcc
	global_load_dword v2, v[22:23], off
.LBB23_11:
	;; [unrolled: 19-line block ×3, first 2 shown]
	s_or_b64 exec, exec, s[0:1]
	v_or_b32_e32 v22, 0x400, v16
	v_cmp_lt_i32_e32 vcc, v22, v17
	s_and_saveexec_b64 s[0:1], vcc
	s_cbranch_execz .LBB23_15
; %bb.14:
	v_lshlrev_b32_e32 v24, 2, v22
	v_mov_b32_e32 v25, 0
	v_lshl_add_u64 v[28:29], v[20:21], 0, v[24:25]
	v_sub_u32_e32 v24, v22, v26
	v_lshl_add_u64 v[24:25], v[24:25], 2, v[18:19]
	v_cmp_lt_i32_e32 vcc, v22, v26
	s_nop 1
	v_cndmask_b32_e32 v23, v25, v29, vcc
	v_cndmask_b32_e32 v22, v24, v28, vcc
	global_load_dword v4, v[22:23], off
.LBB23_15:
	s_or_b64 exec, exec, s[0:1]
	v_add_u32_e32 v22, 0x500, v16
	v_cmp_lt_i32_e32 vcc, v22, v17
	s_and_saveexec_b64 s[0:1], vcc
	s_cbranch_execz .LBB23_17
; %bb.16:
	v_lshlrev_b32_e32 v24, 2, v22
	v_mov_b32_e32 v25, 0
	v_lshl_add_u64 v[28:29], v[20:21], 0, v[24:25]
	v_sub_u32_e32 v24, v22, v26
	v_lshl_add_u64 v[24:25], v[24:25], 2, v[18:19]
	v_cmp_lt_i32_e32 vcc, v22, v26
	s_nop 1
	v_cndmask_b32_e32 v23, v25, v29, vcc
	v_cndmask_b32_e32 v22, v24, v28, vcc
	global_load_dword v5, v[22:23], off
.LBB23_17:
	s_or_b64 exec, exec, s[0:1]
	v_add_u32_e32 v22, 0x600, v16
	;; [unrolled: 17-line block ×3, first 2 shown]
	v_cmp_lt_i32_e32 vcc, v22, v17
	s_and_saveexec_b64 s[0:1], vcc
	s_cbranch_execz .LBB23_21
; %bb.20:
	v_lshlrev_b32_e32 v24, 2, v22
	v_mov_b32_e32 v25, 0
	v_lshl_add_u64 v[28:29], v[20:21], 0, v[24:25]
	v_sub_u32_e32 v24, v22, v26
	v_lshl_add_u64 v[24:25], v[24:25], 2, v[18:19]
	v_cmp_lt_i32_e32 vcc, v22, v26
	s_nop 1
	v_cndmask_b32_e32 v23, v25, v29, vcc
	v_cndmask_b32_e32 v22, v24, v28, vcc
	global_load_dword v7, v[22:23], off
.LBB23_21:
	s_or_b64 exec, exec, s[0:1]
	v_or_b32_e32 v22, 0x800, v16
	v_cmp_lt_i32_e32 vcc, v22, v17
	s_and_saveexec_b64 s[0:1], vcc
	s_cbranch_execz .LBB23_23
; %bb.22:
	v_lshlrev_b32_e32 v24, 2, v22
	v_mov_b32_e32 v25, 0
	v_lshl_add_u64 v[28:29], v[20:21], 0, v[24:25]
	v_sub_u32_e32 v24, v22, v26
	v_lshl_add_u64 v[24:25], v[24:25], 2, v[18:19]
	v_cmp_lt_i32_e32 vcc, v22, v26
	s_nop 1
	v_cndmask_b32_e32 v23, v25, v29, vcc
	v_cndmask_b32_e32 v22, v24, v28, vcc
	global_load_dword v8, v[22:23], off
.LBB23_23:
	s_or_b64 exec, exec, s[0:1]
	v_add_u32_e32 v22, 0x900, v16
	v_cmp_lt_i32_e32 vcc, v22, v17
	s_and_saveexec_b64 s[0:1], vcc
	s_cbranch_execz .LBB23_25
; %bb.24:
	v_lshlrev_b32_e32 v24, 2, v22
	v_mov_b32_e32 v25, 0
	v_lshl_add_u64 v[28:29], v[20:21], 0, v[24:25]
	v_sub_u32_e32 v24, v22, v26
	v_lshl_add_u64 v[24:25], v[24:25], 2, v[18:19]
	v_cmp_lt_i32_e32 vcc, v22, v26
	s_nop 1
	v_cndmask_b32_e32 v23, v25, v29, vcc
	v_cndmask_b32_e32 v22, v24, v28, vcc
	global_load_dword v9, v[22:23], off
.LBB23_25:
	s_or_b64 exec, exec, s[0:1]
	v_add_u32_e32 v22, 0xa00, v16
	;; [unrolled: 17-line block ×3, first 2 shown]
	v_cmp_lt_i32_e32 vcc, v22, v17
	s_and_saveexec_b64 s[0:1], vcc
	s_cbranch_execz .LBB23_29
; %bb.28:
	v_lshlrev_b32_e32 v24, 2, v22
	v_mov_b32_e32 v25, 0
	v_lshl_add_u64 v[28:29], v[20:21], 0, v[24:25]
	v_sub_u32_e32 v24, v22, v26
	v_lshl_add_u64 v[24:25], v[24:25], 2, v[18:19]
	v_cmp_lt_i32_e32 vcc, v22, v26
	s_nop 1
	v_cndmask_b32_e32 v23, v25, v29, vcc
	v_cndmask_b32_e32 v22, v24, v28, vcc
	global_load_dword v11, v[22:23], off
.LBB23_29:
	s_or_b64 exec, exec, s[0:1]
	v_or_b32_e32 v22, 0xc00, v16
	v_cmp_lt_i32_e32 vcc, v22, v17
	s_and_saveexec_b64 s[0:1], vcc
	s_cbranch_execz .LBB23_31
; %bb.30:
	v_lshlrev_b32_e32 v24, 2, v22
	v_mov_b32_e32 v25, 0
	v_lshl_add_u64 v[28:29], v[20:21], 0, v[24:25]
	v_sub_u32_e32 v24, v22, v26
	v_lshl_add_u64 v[24:25], v[24:25], 2, v[18:19]
	v_cmp_lt_i32_e32 vcc, v22, v26
	s_nop 1
	v_cndmask_b32_e32 v23, v25, v29, vcc
	v_cndmask_b32_e32 v22, v24, v28, vcc
	global_load_dword v12, v[22:23], off
.LBB23_31:
	s_or_b64 exec, exec, s[0:1]
	v_add_u32_e32 v22, 0xd00, v16
	v_cmp_lt_i32_e32 vcc, v22, v17
	s_and_saveexec_b64 s[0:1], vcc
	s_cbranch_execz .LBB23_33
; %bb.32:
	v_lshlrev_b32_e32 v24, 2, v22
	v_mov_b32_e32 v25, 0
	v_lshl_add_u64 v[28:29], v[20:21], 0, v[24:25]
	v_sub_u32_e32 v24, v22, v26
	v_lshl_add_u64 v[24:25], v[24:25], 2, v[18:19]
	v_cmp_lt_i32_e32 vcc, v22, v26
	s_nop 1
	v_cndmask_b32_e32 v23, v25, v29, vcc
	v_cndmask_b32_e32 v22, v24, v28, vcc
	global_load_dword v13, v[22:23], off
.LBB23_33:
	s_or_b64 exec, exec, s[0:1]
	v_add_u32_e32 v22, 0xe00, v16
	;; [unrolled: 17-line block ×3, first 2 shown]
	v_cmp_lt_i32_e32 vcc, v22, v17
	s_and_saveexec_b64 s[0:1], vcc
	s_cbranch_execz .LBB23_37
; %bb.36:
	v_lshlrev_b32_e32 v24, 2, v22
	v_mov_b32_e32 v25, 0
	v_lshl_add_u64 v[28:29], v[20:21], 0, v[24:25]
	v_sub_u32_e32 v24, v22, v26
	v_lshl_add_u64 v[24:25], v[24:25], 2, v[18:19]
	v_cmp_lt_i32_e32 vcc, v22, v26
	s_nop 1
	v_cndmask_b32_e32 v23, v25, v29, vcc
	v_cndmask_b32_e32 v22, v24, v28, vcc
	global_load_dword v15, v[22:23], off
.LBB23_37:
	s_or_b64 exec, exec, s[0:1]
	v_lshlrev_b32_e32 v22, 2, v16
	s_waitcnt vmcnt(0)
	ds_write2st64_b32 v22, v2, v3 offset0:84 offset1:88
	ds_write2st64_b32 v22, v4, v5 offset0:92 offset1:96
	;; [unrolled: 1-line block ×8, first 2 shown]
	v_lshlrev_b32_e32 v0, 4, v16
	v_min_i32_e32 v1, v17, v0
	v_lshlrev_b32_e32 v0, 2, v26
	v_add_u32_e32 v2, 0x4800, v0
	v_sub_u32_e32 v0, v1, v27
	v_max_i32_e32 v0, 0, v0
	v_min_i32_e32 v3, v26, v1
	v_cmp_lt_i32_e32 vcc, v0, v3
	s_waitcnt lgkmcnt(0)
	s_barrier
	s_and_saveexec_b64 s[0:1], vcc
	s_cbranch_execz .LBB23_41
; %bb.38:
	v_lshl_add_u32 v4, v1, 2, v2
	v_add_u32_e32 v4, 0x400, v4
	s_mov_b64 s[2:3], 0
.LBB23_39:                              ; =>This Inner Loop Header: Depth=1
	v_add_u32_e32 v5, v3, v0
	v_lshrrev_b32_e32 v5, 1, v5
	v_not_b32_e32 v7, v5
	v_lshlrev_b32_e32 v6, 2, v5
	v_lshl_add_u32 v7, v7, 2, v4
	ds_read_b32 v6, v6 offset:19456
	ds_read_b32 v7, v7
	v_add_u32_e32 v8, 1, v5
	s_waitcnt lgkmcnt(0)
	v_cmp_lt_i32_e32 vcc, v7, v6
	s_nop 1
	v_cndmask_b32_e32 v3, v3, v5, vcc
	v_cndmask_b32_e32 v0, v8, v0, vcc
	v_cmp_ge_i32_e32 vcc, v0, v3
	s_or_b64 s[2:3], vcc, s[2:3]
	s_andn2_b64 exec, exec, s[2:3]
	s_cbranch_execnz .LBB23_39
; %bb.40:
	s_or_b64 exec, exec, s[2:3]
.LBB23_41:
	s_or_b64 exec, exec, s[0:1]
	v_sub_u32_e32 v6, v1, v0
	v_add_u32_e32 v17, 0x4800, v22
	v_cmp_lt_i32_e32 vcc, v6, v27
	v_mov_b32_e32 v4, 0
	s_and_saveexec_b64 s[2:3], vcc
	s_cbranch_execz .LBB23_71
; %bb.42:
	v_lshl_add_u32 v4, v6, 2, v2
	ds_read_b32 v5, v4 offset:1024
	v_mov_b32_e32 v3, 0
	v_cmp_lt_i32_e32 vcc, 0, v0
	v_mov_b32_e32 v7, 0
	s_and_saveexec_b64 s[0:1], vcc
	s_cbranch_execnz .LBB23_47
; %bb.43:
	s_or_b64 exec, exec, s[0:1]
	v_cmp_lt_i32_e32 vcc, v3, v7
	s_and_saveexec_b64 s[0:1], vcc
	s_cbranch_execnz .LBB23_48
.LBB23_44:
	s_or_b64 exec, exec, s[0:1]
	v_cmp_lt_i32_e32 vcc, v3, v7
	s_and_saveexec_b64 s[0:1], vcc
	s_cbranch_execnz .LBB23_49
.LBB23_45:
	s_or_b64 exec, exec, s[0:1]
	v_cmp_lt_i32_e32 vcc, v3, v7
	s_and_saveexec_b64 s[0:1], vcc
	s_cbranch_execnz .LBB23_50
.LBB23_46:
	s_or_b64 exec, exec, s[0:1]
	v_cmp_lt_i32_e32 vcc, v3, v7
	s_and_saveexec_b64 s[0:1], vcc
	s_cbranch_execnz .LBB23_51
	s_branch .LBB23_54
.LBB23_47:
	s_movk_i32 s4, 0x1ff
	v_mul_lo_u32 v3, v0, s4
	v_ashrrev_i32_e32 v7, 9, v3
	v_lshlrev_b32_e32 v3, 2, v7
	ds_read_b32 v3, v3 offset:19456
	v_add_u32_e32 v8, 1, v7
	s_waitcnt lgkmcnt(0)
	v_cmp_lt_i32_e32 vcc, v3, v5
	s_nop 1
	v_cndmask_b32_e32 v3, 0, v8, vcc
	v_cndmask_b32_e32 v7, v7, v0, vcc
	s_or_b64 exec, exec, s[0:1]
	v_cmp_lt_i32_e32 vcc, v3, v7
	s_and_saveexec_b64 s[0:1], vcc
	s_cbranch_execz .LBB23_44
.LBB23_48:
	v_sub_u32_e32 v8, v3, v7
	v_lshl_add_u32 v8, v7, 7, v8
	v_ashrrev_i32_e32 v8, 7, v8
	v_lshlrev_b32_e32 v9, 2, v8
	ds_read_b32 v9, v9 offset:19456
	v_add_u32_e32 v10, 1, v8
	s_waitcnt lgkmcnt(0)
	v_cmp_lt_i32_e32 vcc, v9, v5
	s_nop 1
	v_cndmask_b32_e32 v3, v3, v10, vcc
	v_cndmask_b32_e32 v7, v8, v7, vcc
	s_or_b64 exec, exec, s[0:1]
	v_cmp_lt_i32_e32 vcc, v3, v7
	s_and_saveexec_b64 s[0:1], vcc
	s_cbranch_execz .LBB23_45
.LBB23_49:
	v_sub_u32_e32 v8, v3, v7
	v_lshl_add_u32 v8, v7, 5, v8
	v_ashrrev_i32_e32 v8, 5, v8
	v_lshlrev_b32_e32 v9, 2, v8
	ds_read_b32 v9, v9 offset:19456
	v_add_u32_e32 v10, 1, v8
	s_waitcnt lgkmcnt(0)
	v_cmp_lt_i32_e32 vcc, v9, v5
	s_nop 1
	v_cndmask_b32_e32 v3, v3, v10, vcc
	v_cndmask_b32_e32 v7, v8, v7, vcc
	s_or_b64 exec, exec, s[0:1]
	v_cmp_lt_i32_e32 vcc, v3, v7
	s_and_saveexec_b64 s[0:1], vcc
	s_cbranch_execz .LBB23_46
.LBB23_50:
	v_sub_u32_e32 v8, v3, v7
	v_lshl_add_u32 v8, v7, 4, v8
	v_ashrrev_i32_e32 v8, 4, v8
	v_lshlrev_b32_e32 v9, 2, v8
	ds_read_b32 v9, v9 offset:19456
	v_add_u32_e32 v10, 1, v8
	s_waitcnt lgkmcnt(0)
	v_cmp_lt_i32_e32 vcc, v9, v5
	s_nop 1
	v_cndmask_b32_e32 v3, v3, v10, vcc
	v_cndmask_b32_e32 v7, v8, v7, vcc
	s_or_b64 exec, exec, s[0:1]
	v_cmp_lt_i32_e32 vcc, v3, v7
	s_and_saveexec_b64 s[0:1], vcc
	s_cbranch_execz .LBB23_54
.LBB23_51:
	s_mov_b64 s[4:5], 0
.LBB23_52:                              ; =>This Inner Loop Header: Depth=1
	v_sub_u32_e32 v8, v3, v7
	v_lshl_add_u32 v8, v7, 1, v8
	v_ashrrev_i32_e32 v8, 1, v8
	v_lshlrev_b32_e32 v9, 2, v8
	ds_read_b32 v9, v9 offset:19456
	v_add_u32_e32 v10, 1, v8
	s_waitcnt lgkmcnt(0)
	v_cmp_lt_i32_e32 vcc, v9, v5
	s_nop 1
	v_cndmask_b32_e32 v3, v3, v10, vcc
	v_cndmask_b32_e32 v7, v8, v7, vcc
	v_cmp_ge_i32_e32 vcc, v3, v7
	s_or_b64 s[4:5], vcc, s[4:5]
	s_andn2_b64 exec, exec, s[4:5]
	s_cbranch_execnz .LBB23_52
; %bb.53:
	s_or_b64 exec, exec, s[4:5]
.LBB23_54:
	s_or_b64 exec, exec, s[0:1]
	v_mov_b32_e32 v7, 0
	v_cmp_lt_i32_e32 vcc, 0, v6
	v_mov_b32_e32 v8, v6
	s_and_saveexec_b64 s[0:1], vcc
	s_cbranch_execnz .LBB23_59
; %bb.55:
	s_or_b64 exec, exec, s[0:1]
	v_cmp_lt_i32_e32 vcc, v7, v8
	s_and_saveexec_b64 s[0:1], vcc
	s_cbranch_execnz .LBB23_60
.LBB23_56:
	s_or_b64 exec, exec, s[0:1]
	v_cmp_lt_i32_e32 vcc, v7, v8
	s_and_saveexec_b64 s[0:1], vcc
	s_cbranch_execnz .LBB23_61
.LBB23_57:
	s_or_b64 exec, exec, s[0:1]
	v_cmp_lt_i32_e32 vcc, v7, v8
	s_and_saveexec_b64 s[0:1], vcc
	s_cbranch_execnz .LBB23_62
.LBB23_58:
	s_or_b64 exec, exec, s[0:1]
	v_cmp_lt_i32_e32 vcc, v7, v8
	s_and_saveexec_b64 s[0:1], vcc
	s_cbranch_execnz .LBB23_63
	s_branch .LBB23_66
.LBB23_59:
	s_movk_i32 s4, 0x1ff
	v_mul_lo_u32 v7, v6, s4
	v_lshrrev_b32_e32 v8, 9, v7
	v_lshl_add_u32 v7, v8, 2, v2
	ds_read_b32 v7, v7 offset:1024
	v_add_u32_e32 v9, 1, v8
	s_waitcnt lgkmcnt(0)
	v_cmp_lt_i32_e32 vcc, v7, v5
	s_nop 1
	v_cndmask_b32_e32 v7, 0, v9, vcc
	v_cndmask_b32_e32 v8, v8, v6, vcc
	s_or_b64 exec, exec, s[0:1]
	v_cmp_lt_i32_e32 vcc, v7, v8
	s_and_saveexec_b64 s[0:1], vcc
	s_cbranch_execz .LBB23_56
.LBB23_60:
	v_sub_u32_e32 v9, v7, v8
	v_lshl_add_u32 v9, v8, 7, v9
	v_ashrrev_i32_e32 v9, 7, v9
	v_lshl_add_u32 v10, v9, 2, v2
	ds_read_b32 v10, v10 offset:1024
	v_add_u32_e32 v11, 1, v9
	s_waitcnt lgkmcnt(0)
	v_cmp_lt_i32_e32 vcc, v10, v5
	s_nop 1
	v_cndmask_b32_e32 v7, v7, v11, vcc
	v_cndmask_b32_e32 v8, v9, v8, vcc
	s_or_b64 exec, exec, s[0:1]
	v_cmp_lt_i32_e32 vcc, v7, v8
	s_and_saveexec_b64 s[0:1], vcc
	s_cbranch_execz .LBB23_57
.LBB23_61:
	v_sub_u32_e32 v9, v7, v8
	v_lshl_add_u32 v9, v8, 5, v9
	v_ashrrev_i32_e32 v9, 5, v9
	v_lshl_add_u32 v10, v9, 2, v2
	ds_read_b32 v10, v10 offset:1024
	v_add_u32_e32 v11, 1, v9
	s_waitcnt lgkmcnt(0)
	v_cmp_lt_i32_e32 vcc, v10, v5
	s_nop 1
	v_cndmask_b32_e32 v7, v7, v11, vcc
	v_cndmask_b32_e32 v8, v9, v8, vcc
	s_or_b64 exec, exec, s[0:1]
	v_cmp_lt_i32_e32 vcc, v7, v8
	s_and_saveexec_b64 s[0:1], vcc
	s_cbranch_execz .LBB23_58
.LBB23_62:
	v_sub_u32_e32 v9, v7, v8
	v_lshl_add_u32 v9, v8, 4, v9
	v_ashrrev_i32_e32 v9, 4, v9
	v_lshl_add_u32 v10, v9, 2, v2
	ds_read_b32 v10, v10 offset:1024
	v_add_u32_e32 v11, 1, v9
	s_waitcnt lgkmcnt(0)
	v_cmp_lt_i32_e32 vcc, v10, v5
	s_nop 1
	v_cndmask_b32_e32 v7, v7, v11, vcc
	v_cndmask_b32_e32 v8, v9, v8, vcc
	s_or_b64 exec, exec, s[0:1]
	v_cmp_lt_i32_e32 vcc, v7, v8
	s_and_saveexec_b64 s[0:1], vcc
	s_cbranch_execz .LBB23_66
.LBB23_63:
	s_mov_b64 s[4:5], 0
.LBB23_64:                              ; =>This Inner Loop Header: Depth=1
	v_sub_u32_e32 v9, v7, v8
	v_lshl_add_u32 v9, v8, 1, v9
	v_ashrrev_i32_e32 v9, 1, v9
	v_lshl_add_u32 v10, v9, 2, v2
	ds_read_b32 v10, v10 offset:1024
	v_add_u32_e32 v11, 1, v9
	s_waitcnt lgkmcnt(0)
	v_cmp_lt_i32_e32 vcc, v10, v5
	s_nop 1
	v_cndmask_b32_e32 v7, v7, v11, vcc
	v_cndmask_b32_e32 v8, v9, v8, vcc
	v_cmp_ge_i32_e32 vcc, v7, v8
	s_or_b64 s[4:5], vcc, s[4:5]
	s_andn2_b64 exec, exec, s[4:5]
	s_cbranch_execnz .LBB23_64
; %bb.65:
	s_or_b64 exec, exec, s[4:5]
.LBB23_66:
	s_or_b64 exec, exec, s[0:1]
	v_sub_u32_e32 v0, v0, v3
	v_sub_u32_e32 v8, v6, v7
	v_add_u32_e32 v2, v8, v0
	v_ashrrev_i32_e32 v0, 1, v2
	v_max_i32_e32 v0, v0, v8
	v_add3_u32 v7, v7, v0, 1
	v_min_i32_e32 v7, v7, v27
	v_sub_u32_e32 v7, v7, v6
	v_mov_b32_e32 v6, 0
	v_cmp_lt_i32_e32 vcc, 0, v7
	s_and_saveexec_b64 s[0:1], vcc
	s_cbranch_execz .LBB23_70
; %bb.67:
	v_mov_b32_e32 v6, 0
	s_mov_b64 s[4:5], 0
.LBB23_68:                              ; =>This Inner Loop Header: Depth=1
	v_add_u32_e32 v9, v6, v7
	v_lshrrev_b32_e32 v9, 1, v9
	v_lshl_add_u32 v10, v9, 2, v4
	ds_read_b32 v10, v10 offset:1024
	v_add_u32_e32 v11, 1, v9
	s_waitcnt lgkmcnt(0)
	v_cmp_lt_i32_e32 vcc, v5, v10
	s_nop 1
	v_cndmask_b32_e32 v6, v11, v6, vcc
	v_cndmask_b32_e32 v7, v7, v9, vcc
	v_cmp_ge_i32_e32 vcc, v6, v7
	s_or_b64 s[4:5], vcc, s[4:5]
	s_andn2_b64 exec, exec, s[4:5]
	s_cbranch_execnz .LBB23_68
; %bb.69:
	s_or_b64 exec, exec, s[4:5]
.LBB23_70:
	s_or_b64 exec, exec, s[0:1]
	v_add_u32_e32 v4, v6, v8
	s_waitcnt lgkmcnt(0)
	v_min_i32_e32 v5, v4, v0
	v_sub_u32_e32 v2, v2, v5
	v_add_u32_e32 v5, 1, v5
	v_cmp_eq_u32_e32 vcc, v2, v5
	v_cmp_lt_i32_e64 s[0:1], v0, v4
	s_and_b64 s[0:1], s[0:1], vcc
	v_add_u32_e32 v0, v2, v3
	v_cndmask_b32_e64 v4, 0, 1, s[0:1]
.LBB23_71:
	s_or_b64 exec, exec, s[2:3]
	v_add_u32_e32 v1, v4, v1
	v_sub_u32_e32 v1, v1, v0
	v_lshlrev_b32_e32 v2, 16, v26
	v_or_b32_e32 v2, v2, v27
	v_lshl_or_b32 v3, v0, 16, v1
	v_subrev_co_u32_e64 v4, s[0:1], 1, v16
	v_lshlrev_b32_e32 v6, 2, v0
	s_nop 0
	v_cndmask_b32_e64 v2, v3, v2, s[0:1]
	v_mov_b32_e32 v3, 0xff
	v_cndmask_b32_e64 v3, v4, v3, s[0:1]
	v_lshlrev_b32_e32 v3, 2, v3
	ds_write_b32 v3, v2 offset:18432
	v_add_u32_e32 v3, v1, v26
	s_waitcnt lgkmcnt(0)
	s_barrier
	v_lshlrev_b32_e32 v7, 2, v3
	ds_read_b32 v29, v6 offset:19456
	ds_read_b32 v4, v7 offset:19456
	ds_read_b32 v2, v17
	v_mov_b32_e32 v5, v0
	s_waitcnt lgkmcnt(2)
	v_mov_b32_e32 v28, v29
	s_waitcnt lgkmcnt(1)
	v_cmp_ge_i32_e32 vcc, v4, v29
	s_and_saveexec_b64 s[2:3], vcc
; %bb.72:
	v_add_u32_e32 v5, 0x4800, v6
	ds_read_b32 v28, v5 offset:1028
	v_add_u32_e32 v5, 1, v0
; %bb.73:
	s_or_b64 exec, exec, s[2:3]
	v_cmp_ge_i32_e32 vcc, v29, v4
	v_mov_b32_e32 v6, v4
	s_and_saveexec_b64 s[2:3], vcc
; %bb.74:
	v_add_u32_e32 v6, 0x4800, v7
	ds_read_b32 v6, v6 offset:1028
	v_add_u32_e32 v3, 1, v3
; %bb.75:
	s_or_b64 exec, exec, s[2:3]
	s_waitcnt lgkmcnt(0)
	v_cmp_ge_i32_e32 vcc, v6, v28
	v_mov_b32_e32 v30, v28
	v_mov_b32_e32 v7, v5
	s_and_saveexec_b64 s[2:3], vcc
; %bb.76:
	v_lshlrev_b32_e32 v7, 2, v5
	ds_read_b32 v30, v7 offset:19460
	v_add_u32_e32 v7, 1, v5
; %bb.77:
	s_or_b64 exec, exec, s[2:3]
	v_cmp_ge_i32_e32 vcc, v28, v6
	v_mov_b32_e32 v8, v6
	v_mov_b32_e32 v9, v3
	s_and_saveexec_b64 s[2:3], vcc
; %bb.78:
	v_lshlrev_b32_e32 v8, 2, v3
	ds_read_b32 v8, v8 offset:19460
	v_add_u32_e32 v9, 1, v3
; %bb.79:
	s_or_b64 exec, exec, s[2:3]
	s_waitcnt lgkmcnt(0)
	v_cmp_ge_i32_e32 vcc, v8, v30
	v_mov_b32_e32 v31, v30
	v_mov_b32_e32 v10, v7
	s_and_saveexec_b64 s[2:3], vcc
; %bb.80:
	v_lshlrev_b32_e32 v10, 2, v7
	ds_read_b32 v31, v10 offset:19460
	v_add_u32_e32 v10, 1, v7
; %bb.81:
	s_or_b64 exec, exec, s[2:3]
	v_cmp_ge_i32_e32 vcc, v30, v8
	v_mov_b32_e32 v11, v8
	v_mov_b32_e32 v12, v9
	s_and_saveexec_b64 s[2:3], vcc
; %bb.82:
	v_lshlrev_b32_e32 v11, 2, v9
	;; [unrolled: 21-line block ×14, first 2 shown]
	ds_read_b32 v72, v71 offset:19460
	v_add_u32_e32 v71, 1, v69
; %bb.131:
	s_or_b64 exec, exec, s[2:3]
	v_cmp_ge_i32_sdwa s[4:5], v70, sext(v2) src0_sel:DWORD src1_sel:WORD_1
	v_add_u32_sdwa v70, v2, v26 dst_sel:DWORD dst_unused:UNUSED_PAD src0_sel:WORD_0 src1_sel:DWORD
	v_cmp_ge_i32_e64 s[2:3], v71, v70
	s_waitcnt lgkmcnt(0)
	v_cmp_ne_u32_e32 vcc, v72, v43
	s_or_b64 s[2:3], s[4:5], s[2:3]
	v_mov_b32_e32 v71, 0x8000
	s_or_b64 s[2:3], vcc, s[2:3]
	v_cndmask_b32_e64 v71, v71, 0, s[2:3]
	v_cmp_ge_i32_sdwa s[4:5], v67, sext(v2) src0_sel:DWORD src1_sel:WORD_1
	v_cmp_ge_i32_e64 s[2:3], v69, v70
	v_cmp_ne_u32_e32 vcc, v68, v42
	s_or_b64 s[2:3], s[4:5], s[2:3]
	v_mov_b32_e32 v67, 0x4000
	s_or_b64 s[2:3], vcc, s[2:3]
	v_cndmask_b32_e64 v67, v67, 0, s[2:3]
	v_cmp_ge_i32_sdwa s[4:5], v64, sext(v2) src0_sel:DWORD src1_sel:WORD_1
	v_cmp_ge_i32_e64 s[2:3], v66, v70
	;; [unrolled: 7-line block ×9, first 2 shown]
	v_cmp_ne_u32_e32 vcc, v44, v34
	s_or_b64 s[2:3], s[4:5], s[2:3]
	s_or_b64 s[2:3], vcc, s[2:3]
	v_cndmask_b32_e64 v25, 64, 0, s[2:3]
	v_cmp_ge_i32_sdwa s[4:5], v22, sext(v2) src0_sel:DWORD src1_sel:WORD_1
	v_cmp_ge_i32_e64 s[2:3], v24, v70
	v_cmp_ne_u32_e32 vcc, v23, v33
	s_or_b64 s[2:3], s[4:5], s[2:3]
	s_or_b64 s[16:17], vcc, s[2:3]
	v_cmp_ge_i32_sdwa s[6:7], v13, sext(v2) src0_sel:DWORD src1_sel:WORD_1
	v_cmp_ge_i32_e64 s[2:3], v15, v70
	v_cmp_ne_u32_e32 vcc, v14, v32
	s_or_b64 s[2:3], s[6:7], s[2:3]
	s_or_b64 s[18:19], vcc, s[2:3]
	;; [unrolled: 5-line block ×5, first 2 shown]
	v_cmp_gt_i32_sdwa s[2:3], sext(v2), v0 src0_sel:WORD_1 src1_sel:DWORD
	v_cmp_gt_i32_sdwa s[6:7], v2, v1 src0_sel:WORD_0 src1_sel:DWORD
	v_cmp_eq_u32_e32 vcc, v4, v29
	s_and_b64 s[2:3], s[2:3], s[6:7]
	s_and_b64 s[24:25], s[2:3], vcc
	v_cndmask_b32_e64 v7, 4, 0, s[22:23]
	v_cndmask_b32_e64 v3, 2, 0, s[26:27]
	v_cndmask_b32_e64 v0, 0, 1, s[24:25]
	v_cndmask_b32_e64 v13, 16, 0, s[18:19]
	v_cndmask_b32_e64 v10, 8, 0, s[20:21]
	v_or3_b32 v0, v3, v0, v7
	v_cndmask_b32_e64 v22, 32, 0, s[16:17]
	v_or3_b32 v0, v0, v10, v13
	v_or3_b32 v49, v0, v22, v25
	v_or_b32_e32 v48, v46, v49
	v_or3_b32 v47, v50, v52, v48
	v_or3_b32 v46, v55, v58, v47
	;; [unrolled: 1-line block ×4, first 2 shown]
	s_mov_b64 s[4:5], -1
	v_bcnt_u32_b32 v8, v44, 0
	s_cmp_lg_u32 s14, 0
	v_mov_b32_e32 v9, 0
	s_barrier
	s_cbranch_scc0 .LBB23_159
; %bb.132:
	v_mbcnt_lo_u32_b32 v0, -1, 0
	v_mbcnt_hi_u32_b32 v24, -1, v0
	v_mov_b32_e32 v1, v9
	v_mov_b32_dpp v0, v8 row_shr:1 row_mask:0xf bank_mask:0xf
	v_and_b32_e32 v4, 15, v24
	v_mov_b32_dpp v3, v9 row_shr:1 row_mask:0xf bank_mask:0xf
	v_mov_b32_e32 v2, v9
	v_lshl_add_u64 v[0:1], v[0:1], 0, v[8:9]
	v_lshl_add_u64 v[2:3], v[2:3], 0, v[0:1]
	v_cmp_eq_u32_e32 vcc, 0, v4
	v_and_b32_e32 v7, 16, v24
	v_cmp_eq_u32_e64 s[2:3], 0, v24
	v_cndmask_b32_e64 v1, v3, 0, vcc
	v_cndmask_b32_e32 v5, v0, v8, vcc
	v_cndmask_b32_e32 v0, v2, v8, vcc
	v_mov_b32_dpp v3, v1 row_shr:2 row_mask:0xf bank_mask:0xf
	v_mov_b32_dpp v2, v5 row_shr:2 row_mask:0xf bank_mask:0xf
	v_lshl_add_u64 v[2:3], v[2:3], 0, v[0:1]
	v_cmp_lt_u32_e32 vcc, 1, v4
	v_cmp_ne_u32_e64 s[4:5], 0, v24
	s_nop 0
	v_cndmask_b32_e32 v1, v1, v3, vcc
	v_cndmask_b32_e32 v5, v5, v2, vcc
	;; [unrolled: 1-line block ×3, first 2 shown]
	v_mov_b32_dpp v3, v1 row_shr:4 row_mask:0xf bank_mask:0xf
	v_mov_b32_dpp v2, v5 row_shr:4 row_mask:0xf bank_mask:0xf
	v_lshl_add_u64 v[2:3], v[2:3], 0, v[0:1]
	v_cmp_lt_u32_e32 vcc, 3, v4
	s_nop 1
	v_cndmask_b32_e32 v1, v1, v3, vcc
	v_cndmask_b32_e32 v5, v5, v2, vcc
	;; [unrolled: 1-line block ×3, first 2 shown]
	v_mov_b32_dpp v3, v1 row_shr:8 row_mask:0xf bank_mask:0xf
	v_mov_b32_dpp v2, v5 row_shr:8 row_mask:0xf bank_mask:0xf
	v_lshl_add_u64 v[2:3], v[2:3], 0, v[0:1]
	v_cmp_lt_u32_e32 vcc, 7, v4
	s_nop 1
	v_cndmask_b32_e32 v3, v1, v3, vcc
	v_cndmask_b32_e32 v6, v5, v2, vcc
	;; [unrolled: 1-line block ×3, first 2 shown]
	v_mov_b32_dpp v1, v3 row_bcast:15 row_mask:0xf bank_mask:0xf
	v_mov_b32_dpp v0, v6 row_bcast:15 row_mask:0xf bank_mask:0xf
	v_lshl_add_u64 v[4:5], v[0:1], 0, v[2:3]
	v_cmp_eq_u32_e32 vcc, 0, v7
	s_nop 1
	v_cndmask_b32_e32 v0, v5, v3, vcc
	v_cndmask_b32_e32 v1, v4, v6, vcc
	s_nop 0
	v_mov_b32_dpp v7, v0 row_bcast:31 row_mask:0xf bank_mask:0xf
	v_mov_b32_dpp v6, v1 row_bcast:31 row_mask:0xf bank_mask:0xf
	v_mov_b64_e32 v[0:1], v[8:9]
	s_and_saveexec_b64 s[6:7], s[4:5]
; %bb.133:
	v_cndmask_b32_e32 v1, v5, v3, vcc
	v_cndmask_b32_e32 v0, v4, v2, vcc
	v_cmp_lt_u32_e32 vcc, 31, v24
	s_nop 1
	v_cndmask_b32_e32 v3, 0, v7, vcc
	v_cndmask_b32_e32 v2, 0, v6, vcc
	v_lshl_add_u64 v[0:1], v[2:3], 0, v[0:1]
; %bb.134:
	s_or_b64 exec, exec, s[6:7]
	v_and_b32_e32 v3, 0x3c0, v16
	v_min_u32_e32 v3, 0xc0, v3
	v_lshrrev_b32_e32 v2, 6, v16
	v_or_b32_e32 v3, 63, v3
	v_cmp_eq_u32_e32 vcc, v16, v3
	v_lshlrev_b32_e32 v2, 3, v2
	s_and_saveexec_b64 s[4:5], vcc
; %bb.135:
	ds_write_b64 v2, v[0:1] offset:18432
; %bb.136:
	s_or_b64 exec, exec, s[4:5]
	v_cmp_gt_u32_e32 vcc, 4, v16
	s_waitcnt lgkmcnt(0)
	s_barrier
	s_and_saveexec_b64 s[6:7], vcc
	s_cbranch_execz .LBB23_138
; %bb.137:
	v_lshlrev_b32_e32 v3, 3, v16
	ds_read_b64 v[4:5], v3 offset:18432
	v_mov_b32_e32 v6, 0
	v_mov_b32_e32 v11, v6
	v_and_b32_e32 v12, 3, v24
	v_cmp_eq_u32_e32 vcc, 0, v12
	s_waitcnt lgkmcnt(0)
	v_mov_b32_dpp v10, v4 row_shr:1 row_mask:0xf bank_mask:0xf
	v_mov_b32_dpp v7, v5 row_shr:1 row_mask:0xf bank_mask:0xf
	v_lshl_add_u64 v[10:11], v[4:5], 0, v[10:11]
	v_lshl_add_u64 v[6:7], v[6:7], 0, v[10:11]
	v_cndmask_b32_e32 v11, v7, v5, vcc
	v_cndmask_b32_e32 v10, v10, v4, vcc
	v_cmp_ne_u32_e64 s[4:5], 1, v12
	v_mov_b32_dpp v11, v11 row_shr:2 row_mask:0xf bank_mask:0xf
	v_mov_b32_dpp v10, v10 row_shr:2 row_mask:0xf bank_mask:0xf
	v_cndmask_b32_e64 v10, 0, v10, s[4:5]
	v_cndmask_b32_e64 v11, 0, v11, s[4:5]
	v_lshl_add_u64 v[6:7], v[10:11], 0, v[6:7]
	v_cndmask_b32_e32 v5, v7, v5, vcc
	v_cndmask_b32_e32 v4, v6, v4, vcc
	ds_write_b64 v3, v[4:5] offset:18432
.LBB23_138:
	s_or_b64 exec, exec, s[6:7]
	v_cmp_gt_u32_e32 vcc, 64, v16
	v_cmp_lt_u32_e64 s[4:5], 63, v16
	s_waitcnt lgkmcnt(0)
	s_barrier
                                        ; implicit-def: $vgpr10_vgpr11
	s_and_saveexec_b64 s[6:7], s[4:5]
	s_cbranch_execz .LBB23_140
; %bb.139:
	ds_read_b64 v[10:11], v2 offset:18424
	s_waitcnt lgkmcnt(0)
	v_lshl_add_u64 v[0:1], v[10:11], 0, v[0:1]
.LBB23_140:
	s_or_b64 exec, exec, s[6:7]
	v_add_u32_e32 v1, -1, v24
	v_and_b32_e32 v2, 64, v24
	v_cmp_lt_i32_e64 s[4:5], v1, v2
	s_nop 1
	v_cndmask_b32_e64 v1, v1, v24, s[4:5]
	v_lshlrev_b32_e32 v1, 2, v1
	ds_bpermute_b32 v50, v1, v0
	s_and_saveexec_b64 s[28:29], vcc
	s_cbranch_execz .LBB23_164
; %bb.141:
	v_mov_b32_e32 v3, 0
	ds_read_b64 v[0:1], v3 offset:18456
	s_and_saveexec_b64 s[4:5], s[2:3]
	s_cbranch_execz .LBB23_143
; %bb.142:
	s_add_i32 s6, s14, 64
	s_mov_b32 s7, 0
	s_lshl_b64 s[6:7], s[6:7], 4
	s_add_u32 s6, s12, s6
	s_addc_u32 s7, s13, s7
	v_mov_b32_e32 v2, 1
	v_mov_b64_e32 v[4:5], s[6:7]
	s_waitcnt lgkmcnt(0)
	;;#ASMSTART
	global_store_dwordx4 v[4:5], v[0:3] off sc1	
s_waitcnt vmcnt(0)
	;;#ASMEND
.LBB23_143:
	s_or_b64 exec, exec, s[4:5]
	v_xad_u32 v12, v24, -1, s14
	v_add_u32_e32 v2, 64, v12
	v_lshl_add_u64 v[14:15], v[2:3], 4, s[12:13]
	;;#ASMSTART
	global_load_dwordx4 v[4:7], v[14:15] off sc1	
s_waitcnt vmcnt(0)
	;;#ASMEND
	s_nop 0
	v_cmp_eq_u16_sdwa s[6:7], v6, v3 src0_sel:BYTE_0 src1_sel:DWORD
	s_and_saveexec_b64 s[4:5], s[6:7]
	s_cbranch_execz .LBB23_147
; %bb.144:
	s_mov_b64 s[6:7], 0
	v_mov_b32_e32 v2, 0
.LBB23_145:                             ; =>This Inner Loop Header: Depth=1
	;;#ASMSTART
	global_load_dwordx4 v[4:7], v[14:15] off sc1	
s_waitcnt vmcnt(0)
	;;#ASMEND
	s_nop 0
	v_cmp_ne_u16_sdwa s[30:31], v6, v2 src0_sel:BYTE_0 src1_sel:DWORD
	s_or_b64 s[6:7], s[30:31], s[6:7]
	s_andn2_b64 exec, exec, s[6:7]
	s_cbranch_execnz .LBB23_145
; %bb.146:
	s_or_b64 exec, exec, s[6:7]
.LBB23_147:
	s_or_b64 exec, exec, s[4:5]
	v_mov_b32_e32 v51, 2
	v_cmp_eq_u16_sdwa s[4:5], v6, v51 src0_sel:BYTE_0 src1_sel:DWORD
	v_lshlrev_b64 v[14:15], v24, -1
	v_and_b32_e32 v52, 63, v24
	v_and_b32_e32 v2, s5, v15
	v_or_b32_e32 v2, 0x80000000, v2
	v_and_b32_e32 v3, s4, v14
	v_ffbl_b32_e32 v2, v2
	v_add_u32_e32 v2, 32, v2
	v_ffbl_b32_e32 v3, v3
	v_cmp_ne_u32_e32 vcc, 63, v52
	v_min_u32_e32 v7, v3, v2
	v_mov_b32_e32 v13, 0
	v_addc_co_u32_e32 v2, vcc, 0, v24, vcc
	v_lshlrev_b32_e32 v53, 2, v2
	ds_bpermute_b32 v2, v53, v4
	ds_bpermute_b32 v23, v53, v5
	v_mov_b32_e32 v3, v13
	v_mov_b32_e32 v22, v13
	v_cmp_lt_u32_e64 s[4:5], v52, v7
	s_waitcnt lgkmcnt(1)
	v_lshl_add_u64 v[2:3], v[4:5], 0, v[2:3]
	v_cmp_gt_u32_e32 vcc, 62, v52
	s_waitcnt lgkmcnt(0)
	v_lshl_add_u64 v[22:23], v[22:23], 0, v[2:3]
	v_cndmask_b32_e64 v25, v4, v2, s[4:5]
	v_cndmask_b32_e64 v2, 0, 2, vcc
	v_cndmask_b32_e64 v3, v5, v23, s[4:5]
	v_add_lshl_u32 v54, v2, v24, 2
	ds_bpermute_b32 v56, v54, v25
	ds_bpermute_b32 v57, v54, v3
	v_cndmask_b32_e64 v2, v4, v22, s[4:5]
	v_add_u32_e32 v55, 2, v52
	v_cmp_gt_u32_e32 vcc, v55, v7
	v_cmp_gt_u32_e64 s[6:7], 60, v52
	s_waitcnt lgkmcnt(0)
	v_lshl_add_u64 v[22:23], v[56:57], 0, v[2:3]
	v_cndmask_b32_e32 v3, v23, v3, vcc
	v_cndmask_b32_e64 v23, 0, 4, s[6:7]
	v_cndmask_b32_e32 v25, v22, v25, vcc
	v_add_lshl_u32 v56, v23, v24, 2
	ds_bpermute_b32 v58, v56, v25
	ds_bpermute_b32 v59, v56, v3
	v_cndmask_b32_e32 v2, v22, v2, vcc
	v_add_u32_e32 v57, 4, v52
	v_cmp_gt_u32_e32 vcc, v57, v7
	v_cmp_gt_u32_e64 s[6:7], 56, v52
	s_waitcnt lgkmcnt(0)
	v_lshl_add_u64 v[22:23], v[58:59], 0, v[2:3]
	v_cndmask_b32_e32 v3, v23, v3, vcc
	v_cndmask_b32_e64 v23, 0, 8, s[6:7]
	v_cndmask_b32_e32 v25, v22, v25, vcc
	v_add_lshl_u32 v58, v23, v24, 2
	ds_bpermute_b32 v60, v58, v25
	ds_bpermute_b32 v61, v58, v3
	v_cndmask_b32_e32 v2, v22, v2, vcc
	;; [unrolled: 12-line block ×3, first 2 shown]
	v_add_u32_e32 v61, 16, v52
	v_cmp_gt_u32_e32 vcc, v61, v7
	s_waitcnt lgkmcnt(0)
	v_lshl_add_u64 v[22:23], v[62:63], 0, v[2:3]
	v_mov_b32_e32 v62, 0x80
	v_cndmask_b32_e32 v63, v23, v3, vcc
	v_cndmask_b32_e32 v25, v22, v25, vcc
	v_lshl_or_b32 v62, v24, 2, v62
	ds_bpermute_b32 v24, v62, v25
	ds_bpermute_b32 v25, v62, v63
	v_add_u32_e32 v63, 32, v52
	s_and_saveexec_b64 s[6:7], s[4:5]
	s_cbranch_execz .LBB23_149
; %bb.148:
	v_cndmask_b32_e32 v3, v23, v3, vcc
	v_cndmask_b32_e32 v2, v22, v2, vcc
	v_cmp_le_u32_e32 vcc, v63, v7
	s_waitcnt lgkmcnt(0)
	s_nop 0
	v_cndmask_b32_e32 v5, 0, v25, vcc
	v_cndmask_b32_e32 v4, 0, v24, vcc
	v_lshl_add_u64 v[4:5], v[4:5], 0, v[2:3]
.LBB23_149:
	s_or_b64 exec, exec, s[6:7]
	s_branch .LBB23_152
.LBB23_150:                             ;   in Loop: Header=BB23_152 Depth=1
	s_or_b64 exec, exec, s[6:7]
	v_subrev_u32_e32 v12, 64, v12
	v_lshl_add_u64 v[4:5], v[4:5], 0, v[2:3]
	s_mov_b64 s[4:5], 0
.LBB23_151:                             ;   in Loop: Header=BB23_152 Depth=1
	s_and_b64 vcc, exec, s[4:5]
	s_cbranch_vccnz .LBB23_160
.LBB23_152:                             ; =>This Loop Header: Depth=1
                                        ;     Child Loop BB23_155 Depth 2
	v_cmp_ne_u16_sdwa s[4:5], v6, v51 src0_sel:BYTE_0 src1_sel:DWORD
	v_mov_b64_e32 v[2:3], v[4:5]
	s_cmp_lg_u64 s[4:5], exec
	s_mov_b64 s[4:5], -1
                                        ; implicit-def: $vgpr4_vgpr5
	s_cbranch_scc1 .LBB23_151
; %bb.153:                              ;   in Loop: Header=BB23_152 Depth=1
	v_lshl_add_u64 v[22:23], v[12:13], 4, s[12:13]
	;;#ASMSTART
	global_load_dwordx4 v[4:7], v[22:23] off sc1	
s_waitcnt vmcnt(0)
	;;#ASMEND
	s_nop 0
	v_cmp_eq_u16_sdwa s[6:7], v6, v13 src0_sel:BYTE_0 src1_sel:DWORD
	s_and_saveexec_b64 s[4:5], s[6:7]
	s_cbranch_execz .LBB23_157
; %bb.154:                              ;   in Loop: Header=BB23_152 Depth=1
	s_mov_b64 s[6:7], 0
.LBB23_155:                             ;   Parent Loop BB23_152 Depth=1
                                        ; =>  This Inner Loop Header: Depth=2
	;;#ASMSTART
	global_load_dwordx4 v[4:7], v[22:23] off sc1	
s_waitcnt vmcnt(0)
	;;#ASMEND
	s_nop 0
	v_cmp_ne_u16_sdwa s[30:31], v6, v13 src0_sel:BYTE_0 src1_sel:DWORD
	s_or_b64 s[6:7], s[30:31], s[6:7]
	s_andn2_b64 exec, exec, s[6:7]
	s_cbranch_execnz .LBB23_155
; %bb.156:                              ;   in Loop: Header=BB23_152 Depth=1
	s_or_b64 exec, exec, s[6:7]
.LBB23_157:                             ;   in Loop: Header=BB23_152 Depth=1
	s_or_b64 exec, exec, s[4:5]
	v_cmp_eq_u16_sdwa s[4:5], v6, v51 src0_sel:BYTE_0 src1_sel:DWORD
	s_waitcnt lgkmcnt(0)
	ds_bpermute_b32 v25, v53, v5
	v_mov_b32_e32 v24, v13
	v_and_b32_e32 v22, s4, v14
	v_and_b32_e32 v7, s5, v15
	v_ffbl_b32_e32 v23, v22
	ds_bpermute_b32 v22, v53, v4
	v_or_b32_e32 v7, 0x80000000, v7
	v_ffbl_b32_e32 v7, v7
	v_add_u32_e32 v7, 32, v7
	v_min_u32_e32 v7, v23, v7
	v_mov_b32_e32 v23, v13
	s_waitcnt lgkmcnt(0)
	v_lshl_add_u64 v[22:23], v[4:5], 0, v[22:23]
	v_lshl_add_u64 v[24:25], v[24:25], 0, v[22:23]
	v_cmp_lt_u32_e64 s[4:5], v52, v7
	v_cmp_gt_u32_e32 vcc, v55, v7
	s_nop 0
	v_cndmask_b32_e64 v66, v4, v22, s[4:5]
	v_cndmask_b32_e64 v23, v5, v25, s[4:5]
	ds_bpermute_b32 v64, v54, v66
	ds_bpermute_b32 v65, v54, v23
	v_cndmask_b32_e64 v22, v4, v24, s[4:5]
	s_waitcnt lgkmcnt(0)
	v_lshl_add_u64 v[24:25], v[64:65], 0, v[22:23]
	v_cndmask_b32_e32 v66, v24, v66, vcc
	v_cndmask_b32_e32 v23, v25, v23, vcc
	ds_bpermute_b32 v64, v56, v66
	ds_bpermute_b32 v65, v56, v23
	v_cndmask_b32_e32 v22, v24, v22, vcc
	v_cmp_gt_u32_e32 vcc, v57, v7
	s_waitcnt lgkmcnt(0)
	v_lshl_add_u64 v[24:25], v[64:65], 0, v[22:23]
	v_cndmask_b32_e32 v66, v24, v66, vcc
	v_cndmask_b32_e32 v23, v25, v23, vcc
	ds_bpermute_b32 v64, v58, v66
	ds_bpermute_b32 v65, v58, v23
	v_cndmask_b32_e32 v22, v24, v22, vcc
	v_cmp_gt_u32_e32 vcc, v59, v7
	;; [unrolled: 8-line block ×3, first 2 shown]
	s_waitcnt lgkmcnt(0)
	v_lshl_add_u64 v[24:25], v[64:65], 0, v[22:23]
	v_cndmask_b32_e32 v65, v25, v23, vcc
	v_cndmask_b32_e32 v64, v24, v66, vcc
	ds_bpermute_b32 v64, v62, v64
	ds_bpermute_b32 v65, v62, v65
	s_and_saveexec_b64 s[6:7], s[4:5]
	s_cbranch_execz .LBB23_150
; %bb.158:                              ;   in Loop: Header=BB23_152 Depth=1
	v_cndmask_b32_e32 v5, v25, v23, vcc
	v_cndmask_b32_e32 v4, v24, v22, vcc
	v_cmp_le_u32_e32 vcc, v63, v7
	s_waitcnt lgkmcnt(0)
	s_nop 0
	v_cndmask_b32_e32 v23, 0, v65, vcc
	v_cndmask_b32_e32 v22, 0, v64, vcc
	v_lshl_add_u64 v[4:5], v[22:23], 0, v[4:5]
	s_branch .LBB23_150
.LBB23_159:
                                        ; implicit-def: $vgpr0_vgpr1
                                        ; implicit-def: $vgpr4_vgpr5
	s_movk_i32 s15, 0x4820
	s_and_b64 vcc, exec, s[4:5]
	s_cbranch_vccnz .LBB23_165
	s_branch .LBB23_174
.LBB23_160:
	s_and_saveexec_b64 s[4:5], s[2:3]
	s_cbranch_execz .LBB23_162
; %bb.161:
	s_add_i32 s6, s14, 64
	s_mov_b32 s7, 0
	s_lshl_b64 s[6:7], s[6:7], 4
	s_add_u32 s6, s12, s6
	s_addc_u32 s7, s13, s7
	v_lshl_add_u64 v[4:5], v[2:3], 0, v[0:1]
	v_mov_b32_e32 v6, 2
	v_mov_b32_e32 v7, 0
	v_mov_b64_e32 v[12:13], s[6:7]
	;;#ASMSTART
	global_store_dwordx4 v[12:13], v[4:7] off sc1	
s_waitcnt vmcnt(0)
	;;#ASMEND
	ds_write_b128 v7, v[0:3] offset:18464
.LBB23_162:
	s_or_b64 exec, exec, s[4:5]
	s_and_b64 exec, exec, s[0:1]
; %bb.163:
	v_mov_b32_e32 v0, 0
	ds_write_b64 v0, v[2:3] offset:18456
.LBB23_164:
	s_or_b64 exec, exec, s[28:29]
	v_mov_b32_e32 v0, 0
	s_waitcnt lgkmcnt(0)
	s_barrier
	ds_read_b64 v[2:3], v0 offset:18456
	s_waitcnt lgkmcnt(0)
	s_barrier
	ds_read_b64 v[0:1], v0 offset:18472
	v_cndmask_b32_e64 v4, v50, v10, s[2:3]
	v_cndmask_b32_e64 v5, 0, v11, s[2:3]
	;; [unrolled: 1-line block ×4, first 2 shown]
	v_lshl_add_u64 v[4:5], v[2:3], 0, v[4:5]
	s_movk_i32 s15, 0x4820
	s_branch .LBB23_174
.LBB23_165:
	s_waitcnt lgkmcnt(0)
	v_mov_b32_e32 v0, 0
	v_mbcnt_lo_u32_b32 v1, -1, 0
	v_mbcnt_hi_u32_b32 v4, -1, v1
	v_mov_b32_dpp v2, v8 row_shr:1 row_mask:0xf bank_mask:0xf
	v_mov_b32_e32 v3, v0
	v_and_b32_e32 v5, 15, v4
	v_mov_b32_dpp v1, v0 row_shr:1 row_mask:0xf bank_mask:0xf
	v_lshl_add_u64 v[2:3], v[2:3], 0, v[8:9]
	v_lshl_add_u64 v[0:1], v[0:1], 0, v[2:3]
	v_cmp_eq_u32_e32 vcc, 0, v5
	v_cmp_ne_u32_e64 s[4:5], 0, v4
	s_nop 0
	v_cndmask_b32_e64 v1, v1, 0, vcc
	v_cndmask_b32_e32 v6, v2, v8, vcc
	v_cndmask_b32_e32 v0, v0, v8, vcc
	v_mov_b32_dpp v3, v1 row_shr:2 row_mask:0xf bank_mask:0xf
	v_mov_b32_dpp v2, v6 row_shr:2 row_mask:0xf bank_mask:0xf
	v_lshl_add_u64 v[2:3], v[2:3], 0, v[0:1]
	v_cmp_lt_u32_e32 vcc, 1, v5
	s_nop 1
	v_cndmask_b32_e32 v1, v1, v3, vcc
	v_cndmask_b32_e32 v6, v6, v2, vcc
	v_cndmask_b32_e32 v0, v0, v2, vcc
	v_mov_b32_dpp v3, v1 row_shr:4 row_mask:0xf bank_mask:0xf
	v_mov_b32_dpp v2, v6 row_shr:4 row_mask:0xf bank_mask:0xf
	v_lshl_add_u64 v[2:3], v[2:3], 0, v[0:1]
	v_cmp_lt_u32_e32 vcc, 3, v5
	s_nop 1
	v_cndmask_b32_e32 v1, v1, v3, vcc
	;; [unrolled: 8-line block ×3, first 2 shown]
	v_cndmask_b32_e32 v5, v6, v2, vcc
	v_cndmask_b32_e32 v0, v0, v2, vcc
	v_mov_b32_dpp v3, v1 row_bcast:15 row_mask:0xf bank_mask:0xf
	v_mov_b32_dpp v2, v5 row_bcast:15 row_mask:0xf bank_mask:0xf
	v_and_b32_e32 v6, 16, v4
	v_lshl_add_u64 v[2:3], v[2:3], 0, v[0:1]
	v_cmp_eq_u32_e64 s[2:3], 0, v6
	v_cmp_eq_u32_e32 vcc, 0, v4
	s_nop 0
	v_cndmask_b32_e64 v6, v3, v1, s[2:3]
	v_cndmask_b32_e64 v5, v2, v5, s[2:3]
	s_nop 0
	v_mov_b32_dpp v6, v6 row_bcast:31 row_mask:0xf bank_mask:0xf
	v_mov_b32_dpp v5, v5 row_bcast:31 row_mask:0xf bank_mask:0xf
	s_and_saveexec_b64 s[6:7], s[4:5]
; %bb.166:
	v_cndmask_b32_e64 v1, v3, v1, s[2:3]
	v_cndmask_b32_e64 v0, v2, v0, s[2:3]
	v_cmp_lt_u32_e64 s[2:3], 31, v4
	s_nop 1
	v_cndmask_b32_e64 v3, 0, v6, s[2:3]
	v_cndmask_b32_e64 v2, 0, v5, s[2:3]
	v_lshl_add_u64 v[8:9], v[2:3], 0, v[0:1]
; %bb.167:
	s_or_b64 exec, exec, s[6:7]
	v_and_b32_e32 v1, 0x3c0, v16
	v_min_u32_e32 v1, 0xc0, v1
	v_lshrrev_b32_e32 v0, 6, v16
	v_or_b32_e32 v1, 63, v1
	v_cmp_eq_u32_e64 s[2:3], v16, v1
	v_lshlrev_b32_e32 v5, 3, v0
	s_and_saveexec_b64 s[4:5], s[2:3]
; %bb.168:
	ds_write_b64 v5, v[8:9] offset:18432
; %bb.169:
	s_or_b64 exec, exec, s[4:5]
	v_cmp_gt_u32_e64 s[2:3], 4, v16
	s_waitcnt lgkmcnt(0)
	s_barrier
	s_and_saveexec_b64 s[6:7], s[2:3]
	s_cbranch_execz .LBB23_171
; %bb.170:
	v_lshl_add_u32 v9, v16, 2, v17
	ds_read_b64 v[0:1], v9
	v_mov_b32_e32 v2, 0
	v_mov_b32_e32 v7, v2
	v_and_b32_e32 v10, 3, v4
	v_cmp_eq_u32_e64 s[2:3], 0, v10
	s_waitcnt lgkmcnt(0)
	v_mov_b32_dpp v6, v0 row_shr:1 row_mask:0xf bank_mask:0xf
	v_mov_b32_dpp v3, v1 row_shr:1 row_mask:0xf bank_mask:0xf
	v_lshl_add_u64 v[6:7], v[0:1], 0, v[6:7]
	v_lshl_add_u64 v[2:3], v[2:3], 0, v[6:7]
	v_cndmask_b32_e64 v7, v3, v1, s[2:3]
	v_cndmask_b32_e64 v6, v6, v0, s[2:3]
	v_cmp_ne_u32_e64 s[4:5], 1, v10
	v_mov_b32_dpp v7, v7 row_shr:2 row_mask:0xf bank_mask:0xf
	v_mov_b32_dpp v6, v6 row_shr:2 row_mask:0xf bank_mask:0xf
	v_cndmask_b32_e64 v6, 0, v6, s[4:5]
	v_cndmask_b32_e64 v7, 0, v7, s[4:5]
	v_lshl_add_u64 v[2:3], v[6:7], 0, v[2:3]
	v_cndmask_b32_e64 v1, v3, v1, s[2:3]
	v_cndmask_b32_e64 v0, v2, v0, s[2:3]
	ds_write_b64 v9, v[0:1]
.LBB23_171:
	s_or_b64 exec, exec, s[6:7]
	v_cmp_lt_u32_e64 s[2:3], 63, v16
	v_mov_b64_e32 v[0:1], 0
	v_mov_b64_e32 v[2:3], 0
	s_waitcnt lgkmcnt(0)
	s_barrier
	s_and_saveexec_b64 s[4:5], s[2:3]
; %bb.172:
	ds_read_b64 v[2:3], v5 offset:18424
; %bb.173:
	s_or_b64 exec, exec, s[4:5]
	v_add_u32_e32 v5, -1, v4
	v_and_b32_e32 v6, 64, v4
	v_cmp_lt_i32_e64 s[2:3], v5, v6
	s_waitcnt lgkmcnt(0)
	v_add_u32_e32 v3, v2, v8
	s_movk_i32 s15, 0x4818
	v_cndmask_b32_e64 v4, v5, v4, s[2:3]
	v_lshlrev_b32_e32 v4, 2, v4
	ds_bpermute_b32 v3, v4, v3
	s_waitcnt lgkmcnt(0)
	v_cndmask_b32_e32 v4, v3, v2, vcc
.LBB23_174:
	v_mov_b32_e32 v2, s15
	ds_read_b64 v[2:3], v2
	s_xor_b64 s[2:3], s[16:17], -1
	s_xor_b64 s[4:5], s[18:19], -1
	;; [unrolled: 1-line block ×5, first 2 shown]
	s_waitcnt lgkmcnt(1)
	v_sub_u32_e32 v4, v4, v0
	s_waitcnt lgkmcnt(0)
	s_barrier
	s_and_saveexec_b64 s[20:21], s[24:25]
	s_cbranch_execnz .LBB23_225
; %bb.175:
	s_or_b64 exec, exec, s[20:21]
	s_and_saveexec_b64 s[20:21], s[18:19]
	s_cbranch_execnz .LBB23_226
.LBB23_176:
	s_or_b64 exec, exec, s[20:21]
	s_and_saveexec_b64 s[18:19], s[16:17]
	s_cbranch_execnz .LBB23_227
.LBB23_177:
	s_or_b64 exec, exec, s[18:19]
	s_and_saveexec_b64 s[16:17], s[6:7]
	s_cbranch_execnz .LBB23_228
.LBB23_178:
	s_or_b64 exec, exec, s[16:17]
	s_and_saveexec_b64 s[6:7], s[4:5]
	s_cbranch_execnz .LBB23_229
.LBB23_179:
	s_or_b64 exec, exec, s[6:7]
	s_and_saveexec_b64 s[4:5], s[2:3]
.LBB23_180:
	v_lshlrev_b32_e32 v5, 2, v4
	v_add_u32_e32 v4, 1, v4
	ds_write_b32 v5, v33 offset:19456
.LBB23_181:
	s_or_b64 exec, exec, s[4:5]
	v_and_b32_e32 v5, 64, v49
	v_cmp_ne_u32_e32 vcc, 0, v5
	s_and_saveexec_b64 s[2:3], vcc
; %bb.182:
	v_lshlrev_b32_e32 v5, 2, v4
	v_add_u32_e32 v4, 1, v4
	ds_write_b32 v5, v34 offset:19456
; %bb.183:
	s_or_b64 exec, exec, s[2:3]
	v_and_b32_e32 v5, 0x80, v48
	v_cmp_ne_u32_e32 vcc, 0, v5
	s_and_saveexec_b64 s[2:3], vcc
; %bb.184:
	v_lshlrev_b32_e32 v5, 2, v4
	v_add_u32_e32 v4, 1, v4
	ds_write_b32 v5, v35 offset:19456
; %bb.185:
	;; [unrolled: 9-line block ×9, first 2 shown]
	s_or_b64 exec, exec, s[2:3]
	v_and_b32_e32 v5, 0x8000, v44
	v_cmp_ne_u32_e32 vcc, 0, v5
	s_and_saveexec_b64 s[2:3], vcc
; %bb.200:
	v_lshlrev_b32_e32 v4, 2, v4
	ds_write_b32 v4, v43 offset:19456
; %bb.201:
	s_or_b64 exec, exec, s[2:3]
	v_cmp_lt_i32_e32 vcc, v16, v2
	s_waitcnt lgkmcnt(0)
	s_barrier
	s_and_saveexec_b64 s[2:3], vcc
	s_cbranch_execz .LBB23_209
; %bb.202:
	v_xad_u32 v8, v16, -1, v2
	s_movk_i32 s4, 0xff
	v_cmp_lt_u32_e32 vcc, s4, v8
	s_mov_b64 s[6:7], -1
	v_lshlrev_b64 v[4:5], 2, v[0:1]
	v_mov_b32_e32 v6, v16
	s_and_saveexec_b64 s[4:5], vcc
	s_cbranch_execz .LBB23_206
; %bb.203:
	v_lshrrev_b32_e32 v8, 8, v8
	v_add_u32_e32 v12, 1, v8
	v_and_b32_e32 v13, 0x1fffffe, v12
	v_add_u32_e32 v17, 0x100, v16
	v_mov_b32_e32 v8, 0x4c00
	v_lshl_add_u64 v[6:7], s[8:9], 0, v[4:5]
	v_lshl_add_u32 v14, v16, 2, v8
	s_mov_b64 s[6:7], 0
	v_mov_b32_e32 v9, 0
	v_mov_b32_e32 v15, v13
	v_mov_b64_e32 v[10:11], v[16:17]
.LBB23_204:                             ; =>This Inner Loop Header: Depth=1
	ds_read2st64_b32 v[22:23], v14 offset1:4
	v_add_u32_e32 v15, -2, v15
	v_mov_b32_e32 v8, v10
	v_cmp_eq_u32_e32 vcc, 0, v15
	v_add_u32_e32 v10, 0x200, v10
	v_add_u32_e32 v14, 0x800, v14
	v_lshl_add_u64 v[24:25], v[8:9], 2, v[6:7]
	v_mov_b32_e32 v8, v11
	v_add_u32_e32 v11, 0x200, v11
	s_or_b64 s[6:7], vcc, s[6:7]
	v_lshl_add_u64 v[28:29], v[8:9], 2, v[6:7]
	s_waitcnt lgkmcnt(0)
	global_store_dword v[24:25], v22, off
	global_store_dword v[28:29], v23, off
	s_andn2_b64 exec, exec, s[6:7]
	s_cbranch_execnz .LBB23_204
; %bb.205:
	s_or_b64 exec, exec, s[6:7]
	v_cmp_ne_u32_e32 vcc, v12, v13
	v_lshl_add_u32 v6, v13, 8, v16
	s_orn2_b64 s[6:7], vcc, exec
.LBB23_206:
	s_or_b64 exec, exec, s[4:5]
	s_and_b64 exec, exec, s[6:7]
	s_cbranch_execz .LBB23_209
; %bb.207:
	v_mov_b32_e32 v7, 0x4c00
	v_lshl_add_u32 v8, v6, 2, v7
	v_mov_b32_e32 v7, 0
	v_lshl_add_u64 v[4:5], s[8:9], 0, v[4:5]
	v_lshl_add_u64 v[4:5], v[6:7], 2, v[4:5]
	s_mov_b64 s[4:5], 0
	s_mov_b64 s[6:7], 0x400
.LBB23_208:                             ; =>This Inner Loop Header: Depth=1
	ds_read_b32 v7, v8
	v_add_u32_e32 v6, 0x100, v6
	v_cmp_ge_i32_e32 vcc, v6, v2
	v_add_u32_e32 v8, 0x400, v8
	s_or_b64 s[4:5], vcc, s[4:5]
	s_waitcnt lgkmcnt(0)
	global_store_dword v[4:5], v7, off
	v_lshl_add_u64 v[4:5], v[4:5], 0, s[6:7]
	s_andn2_b64 exec, exec, s[4:5]
	s_cbranch_execnz .LBB23_208
.LBB23_209:
	s_or_b64 exec, exec, s[2:3]
	s_and_saveexec_b64 s[2:3], s[0:1]
	s_cbranch_execz .LBB23_211
; %bb.210:
	v_mov_b32_e32 v4, 0
	v_lshl_add_u64 v[0:1], v[2:3], 0, v[0:1]
	global_store_dwordx2 v4, v[0:1], s[10:11]
.LBB23_211:
	s_or_b64 exec, exec, s[2:3]
	s_mov_b64 s[0:1], 0
.LBB23_212:
	s_and_b64 vcc, exec, s[0:1]
	s_cbranch_vccz .LBB23_396
; %bb.213:
	v_mov_b32_e32 v17, 0
	v_lshlrev_b32_e32 v8, 2, v16
	v_mov_b32_e32 v9, v17
	v_sub_u32_e32 v2, v16, v26
	v_mov_b32_e32 v3, v17
	v_lshl_add_u64 v[0:1], v[20:21], 0, v[8:9]
	v_lshl_add_u64 v[2:3], v[2:3], 2, v[18:19]
	v_cmp_lt_i32_e32 vcc, v16, v26
	s_mov_b64 s[0:1], 0x400
	v_mov_b32_e32 v7, v17
	v_cndmask_b32_e32 v3, v3, v1, vcc
	v_cndmask_b32_e32 v2, v2, v0, vcc
	global_load_dword v2, v[2:3], off
	v_add_u32_e32 v3, 0x100, v16
	v_sub_u32_e32 v6, v3, v26
	v_lshl_add_u64 v[4:5], v[0:1], 0, s[0:1]
	v_lshl_add_u64 v[6:7], v[6:7], 2, v[18:19]
	v_cmp_lt_i32_e32 vcc, v3, v26
	v_add_u32_e32 v9, 0x200, v16
	s_mov_b64 s[0:1], 0x800
	v_cndmask_b32_e32 v5, v7, v5, vcc
	v_cndmask_b32_e32 v4, v6, v4, vcc
	v_sub_u32_e32 v6, v9, v26
	v_mov_b32_e32 v7, v17
	global_load_dword v3, v[4:5], off
	v_lshl_add_u64 v[4:5], v[0:1], 0, s[0:1]
	v_lshl_add_u64 v[6:7], v[6:7], 2, v[18:19]
	v_cmp_lt_i32_e32 vcc, v9, v26
	s_mov_b64 s[0:1], 0xc00
	v_mov_b32_e32 v11, v17
	v_cndmask_b32_e32 v5, v7, v5, vcc
	v_cndmask_b32_e32 v4, v6, v4, vcc
	global_load_dword v4, v[4:5], off
	v_add_u32_e32 v5, 0x300, v16
	v_sub_u32_e32 v10, v5, v26
	v_lshl_add_u64 v[6:7], v[0:1], 0, s[0:1]
	v_lshl_add_u64 v[10:11], v[10:11], 2, v[18:19]
	v_cmp_lt_i32_e32 vcc, v5, v26
	v_or_b32_e32 v9, 0x400, v16
	s_mov_b64 s[0:1], 0x1400
	v_cndmask_b32_e32 v7, v11, v7, vcc
	v_cndmask_b32_e32 v6, v10, v6, vcc
	global_load_dword v5, v[6:7], off
	v_lshlrev_b32_e32 v6, 2, v9
	v_mov_b32_e32 v7, v17
	v_sub_u32_e32 v10, v9, v26
	v_mov_b32_e32 v11, v17
	v_lshl_add_u64 v[6:7], v[20:21], 0, v[6:7]
	v_lshl_add_u64 v[10:11], v[10:11], 2, v[18:19]
	v_cmp_lt_i32_e32 vcc, v9, v26
	v_mov_b32_e32 v13, v17
	v_add_u32_e32 v9, 0x600, v16
	v_cndmask_b32_e32 v7, v11, v7, vcc
	v_cndmask_b32_e32 v6, v10, v6, vcc
	global_load_dword v6, v[6:7], off
	v_add_u32_e32 v7, 0x500, v16
	v_sub_u32_e32 v12, v7, v26
	v_lshl_add_u64 v[10:11], v[0:1], 0, s[0:1]
	v_lshl_add_u64 v[12:13], v[12:13], 2, v[18:19]
	v_cmp_lt_i32_e32 vcc, v7, v26
	s_mov_b64 s[0:1], 0x1800
	v_add_u32_e32 v14, 0x700, v16
	v_cndmask_b32_e32 v11, v13, v11, vcc
	v_cndmask_b32_e32 v10, v12, v10, vcc
	v_sub_u32_e32 v12, v9, v26
	v_mov_b32_e32 v13, v17
	global_load_dword v7, v[10:11], off
	v_lshl_add_u64 v[10:11], v[0:1], 0, s[0:1]
	v_lshl_add_u64 v[12:13], v[12:13], 2, v[18:19]
	v_cmp_lt_i32_e32 vcc, v9, v26
	s_mov_b64 s[0:1], 0x1c00
	v_mov_b32_e32 v15, v17
	v_cndmask_b32_e32 v11, v13, v11, vcc
	v_cndmask_b32_e32 v10, v12, v10, vcc
	v_sub_u32_e32 v12, v14, v26
	v_mov_b32_e32 v13, v17
	global_load_dword v9, v[10:11], off
	v_lshl_add_u64 v[10:11], v[0:1], 0, s[0:1]
	v_lshl_add_u64 v[12:13], v[12:13], 2, v[18:19]
	v_cmp_lt_i32_e32 vcc, v14, v26
	v_add_u32_e32 v22, 0x900, v16
	s_mov_b64 s[0:1], 0x2400
	v_cndmask_b32_e32 v11, v13, v11, vcc
	v_cndmask_b32_e32 v10, v12, v10, vcc
	global_load_dword v10, v[10:11], off
	v_or_b32_e32 v11, 0x800, v16
	v_lshlrev_b32_e32 v12, 2, v11
	v_mov_b32_e32 v13, v17
	v_sub_u32_e32 v14, v11, v26
	v_lshl_add_u64 v[12:13], v[20:21], 0, v[12:13]
	v_lshl_add_u64 v[14:15], v[14:15], 2, v[18:19]
	v_cmp_lt_i32_e32 vcc, v11, v26
	v_mov_b32_e32 v23, v17
	v_add_u32_e32 v24, 0xb00, v16
	v_cndmask_b32_e32 v13, v15, v13, vcc
	v_cndmask_b32_e32 v12, v14, v12, vcc
	v_sub_u32_e32 v14, v22, v26
	v_mov_b32_e32 v15, v17
	global_load_dword v11, v[12:13], off
	v_lshl_add_u64 v[12:13], v[0:1], 0, s[0:1]
	v_lshl_add_u64 v[14:15], v[14:15], 2, v[18:19]
	v_cmp_lt_i32_e32 vcc, v22, v26
	s_mov_b64 s[0:1], 0x2800
	v_mov_b32_e32 v25, v17
	v_cndmask_b32_e32 v13, v15, v13, vcc
	v_cndmask_b32_e32 v12, v14, v12, vcc
	global_load_dword v12, v[12:13], off
	v_add_u32_e32 v13, 0xa00, v16
	v_sub_u32_e32 v22, v13, v26
	v_lshl_add_u64 v[14:15], v[0:1], 0, s[0:1]
	v_lshl_add_u64 v[22:23], v[22:23], 2, v[18:19]
	v_cmp_lt_i32_e32 vcc, v13, v26
	s_mov_b64 s[0:1], 0x2c00
	s_nop 0
	v_cndmask_b32_e32 v15, v23, v15, vcc
	v_cndmask_b32_e32 v14, v22, v14, vcc
	v_sub_u32_e32 v22, v24, v26
	v_mov_b32_e32 v23, v17
	global_load_dword v13, v[14:15], off
	v_lshl_add_u64 v[14:15], v[0:1], 0, s[0:1]
	v_lshl_add_u64 v[22:23], v[22:23], 2, v[18:19]
	v_cmp_lt_i32_e32 vcc, v24, v26
	v_add_u32_e32 v24, 0xd00, v16
	s_mov_b64 s[0:1], 0x3400
	v_cndmask_b32_e32 v15, v23, v15, vcc
	v_cndmask_b32_e32 v14, v22, v14, vcc
	global_load_dword v14, v[14:15], off
	v_or_b32_e32 v15, 0xc00, v16
	v_lshlrev_b32_e32 v22, 2, v15
	v_mov_b32_e32 v23, v17
	v_lshl_add_u64 v[20:21], v[20:21], 0, v[22:23]
	v_sub_u32_e32 v22, v15, v26
	v_lshl_add_u64 v[22:23], v[22:23], 2, v[18:19]
	v_cmp_lt_i32_e32 vcc, v15, v26
	s_nop 1
	v_cndmask_b32_e32 v21, v23, v21, vcc
	v_cndmask_b32_e32 v20, v22, v20, vcc
	v_sub_u32_e32 v22, v24, v26
	v_mov_b32_e32 v23, v17
	global_load_dword v15, v[20:21], off
	v_lshl_add_u64 v[20:21], v[0:1], 0, s[0:1]
	v_lshl_add_u64 v[22:23], v[22:23], 2, v[18:19]
	v_cmp_lt_i32_e32 vcc, v24, v26
	s_mov_b64 s[0:1], 0x3800
	s_nop 0
	v_cndmask_b32_e32 v21, v23, v21, vcc
	v_cndmask_b32_e32 v20, v22, v20, vcc
	global_load_dword v20, v[20:21], off
	v_add_u32_e32 v21, 0xe00, v16
	v_sub_u32_e32 v24, v21, v26
	v_lshl_add_u64 v[22:23], v[0:1], 0, s[0:1]
	v_lshl_add_u64 v[24:25], v[24:25], 2, v[18:19]
	v_cmp_lt_i32_e32 vcc, v21, v26
	v_add_u32_e32 v21, v27, v26
	s_nop 0
	v_cndmask_b32_e32 v23, v25, v23, vcc
	v_cndmask_b32_e32 v22, v24, v22, vcc
	global_load_dword v22, v[22:23], off
	v_add_u32_e32 v24, 0xf00, v16
	v_cmp_lt_i32_e32 vcc, v24, v21
	v_mov_b32_e32 v23, 0
	s_and_saveexec_b64 s[0:1], vcc
	s_cbranch_execz .LBB23_215
; %bb.214:
	s_mov_b64 s[2:3], 0x3c00
	v_sub_u32_e32 v28, v24, v26
	v_mov_b32_e32 v29, 0
	v_lshl_add_u64 v[0:1], v[0:1], 0, s[2:3]
	v_lshl_add_u64 v[18:19], v[28:29], 2, v[18:19]
	v_cmp_lt_i32_e32 vcc, v24, v26
	s_nop 1
	v_cndmask_b32_e32 v1, v19, v1, vcc
	v_cndmask_b32_e32 v0, v18, v0, vcc
	global_load_dword v23, v[0:1], off
.LBB23_215:
	s_or_b64 exec, exec, s[0:1]
	v_lshlrev_b32_e32 v0, 4, v16
	v_min_i32_e32 v1, v21, v0
	v_sub_u32_e32 v0, v1, v27
	s_waitcnt vmcnt(13)
	ds_write2st64_b32 v8, v2, v3 offset0:4 offset1:8
	s_waitcnt vmcnt(11)
	ds_write2st64_b32 v8, v4, v5 offset0:12 offset1:16
	;; [unrolled: 2-line block ×8, first 2 shown]
	v_max_i32_e32 v0, 0, v0
	v_min_i32_e32 v3, v26, v1
	v_lshlrev_b32_e32 v2, 2, v26
	v_cmp_lt_i32_e32 vcc, v0, v3
	s_waitcnt lgkmcnt(0)
	s_barrier
	s_and_saveexec_b64 s[0:1], vcc
	s_cbranch_execz .LBB23_219
; %bb.216:
	v_lshl_add_u32 v4, v1, 2, v2
	v_add_u32_e32 v4, 0x400, v4
	s_mov_b64 s[2:3], 0
.LBB23_217:                             ; =>This Inner Loop Header: Depth=1
	v_add_u32_e32 v5, v3, v0
	v_lshrrev_b32_e32 v5, 1, v5
	v_not_b32_e32 v7, v5
	v_lshlrev_b32_e32 v6, 2, v5
	v_lshl_add_u32 v7, v7, 2, v4
	ds_read_b32 v6, v6 offset:1024
	ds_read_b32 v7, v7
	v_add_u32_e32 v9, 1, v5
	s_waitcnt lgkmcnt(0)
	v_cmp_lt_i32_e32 vcc, v7, v6
	s_nop 1
	v_cndmask_b32_e32 v3, v3, v5, vcc
	v_cndmask_b32_e32 v0, v9, v0, vcc
	v_cmp_ge_i32_e32 vcc, v0, v3
	s_or_b64 s[2:3], vcc, s[2:3]
	s_andn2_b64 exec, exec, s[2:3]
	s_cbranch_execnz .LBB23_217
; %bb.218:
	s_or_b64 exec, exec, s[2:3]
.LBB23_219:
	s_or_b64 exec, exec, s[0:1]
	v_sub_u32_e32 v6, v1, v0
	v_cmp_lt_i32_e32 vcc, v6, v27
	v_mov_b32_e32 v4, 0
	s_and_saveexec_b64 s[2:3], vcc
	s_cbranch_execz .LBB23_254
; %bb.220:
	v_lshl_add_u32 v4, v6, 2, v2
	ds_read_b32 v5, v4 offset:1024
	v_mov_b32_e32 v3, 0
	v_cmp_lt_i32_e32 vcc, 0, v0
	v_mov_b32_e32 v7, 0
	s_and_saveexec_b64 s[0:1], vcc
	s_cbranch_execnz .LBB23_230
; %bb.221:
	s_or_b64 exec, exec, s[0:1]
	v_cmp_lt_i32_e32 vcc, v3, v7
	s_and_saveexec_b64 s[0:1], vcc
	s_cbranch_execnz .LBB23_231
.LBB23_222:
	s_or_b64 exec, exec, s[0:1]
	v_cmp_lt_i32_e32 vcc, v3, v7
	s_and_saveexec_b64 s[0:1], vcc
	s_cbranch_execnz .LBB23_232
.LBB23_223:
	s_or_b64 exec, exec, s[0:1]
	v_cmp_lt_i32_e32 vcc, v3, v7
	s_and_saveexec_b64 s[0:1], vcc
	s_cbranch_execnz .LBB23_233
.LBB23_224:
	s_or_b64 exec, exec, s[0:1]
	v_cmp_lt_i32_e32 vcc, v3, v7
	s_and_saveexec_b64 s[0:1], vcc
	s_cbranch_execnz .LBB23_234
	s_branch .LBB23_237
.LBB23_225:
	v_lshlrev_b32_e32 v5, 2, v4
	v_add_u32_e32 v4, 1, v4
	ds_write_b32 v5, v29 offset:19456
	s_or_b64 exec, exec, s[20:21]
	s_and_saveexec_b64 s[20:21], s[18:19]
	s_cbranch_execz .LBB23_176
.LBB23_226:
	v_lshlrev_b32_e32 v5, 2, v4
	v_add_u32_e32 v4, 1, v4
	ds_write_b32 v5, v28 offset:19456
	s_or_b64 exec, exec, s[20:21]
	s_and_saveexec_b64 s[18:19], s[16:17]
	s_cbranch_execz .LBB23_177
.LBB23_227:
	v_lshlrev_b32_e32 v5, 2, v4
	v_add_u32_e32 v4, 1, v4
	ds_write_b32 v5, v30 offset:19456
	s_or_b64 exec, exec, s[18:19]
	s_and_saveexec_b64 s[16:17], s[6:7]
	s_cbranch_execz .LBB23_178
.LBB23_228:
	v_lshlrev_b32_e32 v5, 2, v4
	v_add_u32_e32 v4, 1, v4
	ds_write_b32 v5, v31 offset:19456
	s_or_b64 exec, exec, s[16:17]
	s_and_saveexec_b64 s[6:7], s[4:5]
	s_cbranch_execz .LBB23_179
.LBB23_229:
	v_lshlrev_b32_e32 v5, 2, v4
	v_add_u32_e32 v4, 1, v4
	ds_write_b32 v5, v32 offset:19456
	s_or_b64 exec, exec, s[6:7]
	s_and_saveexec_b64 s[4:5], s[2:3]
	s_cbranch_execnz .LBB23_180
	s_branch .LBB23_181
.LBB23_230:
	s_movk_i32 s4, 0x1ff
	v_mul_lo_u32 v3, v0, s4
	v_ashrrev_i32_e32 v7, 9, v3
	v_lshlrev_b32_e32 v3, 2, v7
	ds_read_b32 v3, v3 offset:1024
	v_add_u32_e32 v9, 1, v7
	s_waitcnt lgkmcnt(0)
	v_cmp_lt_i32_e32 vcc, v3, v5
	s_nop 1
	v_cndmask_b32_e32 v3, 0, v9, vcc
	v_cndmask_b32_e32 v7, v7, v0, vcc
	s_or_b64 exec, exec, s[0:1]
	v_cmp_lt_i32_e32 vcc, v3, v7
	s_and_saveexec_b64 s[0:1], vcc
	s_cbranch_execz .LBB23_222
.LBB23_231:
	v_sub_u32_e32 v9, v3, v7
	v_lshl_add_u32 v9, v7, 7, v9
	v_ashrrev_i32_e32 v9, 7, v9
	v_lshlrev_b32_e32 v10, 2, v9
	ds_read_b32 v10, v10 offset:1024
	v_add_u32_e32 v11, 1, v9
	s_waitcnt lgkmcnt(0)
	v_cmp_lt_i32_e32 vcc, v10, v5
	s_nop 1
	v_cndmask_b32_e32 v3, v3, v11, vcc
	v_cndmask_b32_e32 v7, v9, v7, vcc
	s_or_b64 exec, exec, s[0:1]
	v_cmp_lt_i32_e32 vcc, v3, v7
	s_and_saveexec_b64 s[0:1], vcc
	s_cbranch_execz .LBB23_223
.LBB23_232:
	v_sub_u32_e32 v9, v3, v7
	v_lshl_add_u32 v9, v7, 5, v9
	v_ashrrev_i32_e32 v9, 5, v9
	v_lshlrev_b32_e32 v10, 2, v9
	ds_read_b32 v10, v10 offset:1024
	v_add_u32_e32 v11, 1, v9
	s_waitcnt lgkmcnt(0)
	v_cmp_lt_i32_e32 vcc, v10, v5
	s_nop 1
	v_cndmask_b32_e32 v3, v3, v11, vcc
	v_cndmask_b32_e32 v7, v9, v7, vcc
	s_or_b64 exec, exec, s[0:1]
	v_cmp_lt_i32_e32 vcc, v3, v7
	s_and_saveexec_b64 s[0:1], vcc
	s_cbranch_execz .LBB23_224
.LBB23_233:
	v_sub_u32_e32 v9, v3, v7
	v_lshl_add_u32 v9, v7, 4, v9
	v_ashrrev_i32_e32 v9, 4, v9
	v_lshlrev_b32_e32 v10, 2, v9
	ds_read_b32 v10, v10 offset:1024
	v_add_u32_e32 v11, 1, v9
	s_waitcnt lgkmcnt(0)
	v_cmp_lt_i32_e32 vcc, v10, v5
	s_nop 1
	v_cndmask_b32_e32 v3, v3, v11, vcc
	v_cndmask_b32_e32 v7, v9, v7, vcc
	s_or_b64 exec, exec, s[0:1]
	v_cmp_lt_i32_e32 vcc, v3, v7
	s_and_saveexec_b64 s[0:1], vcc
	s_cbranch_execz .LBB23_237
.LBB23_234:
	s_mov_b64 s[4:5], 0
.LBB23_235:                             ; =>This Inner Loop Header: Depth=1
	v_sub_u32_e32 v9, v3, v7
	v_lshl_add_u32 v9, v7, 1, v9
	v_ashrrev_i32_e32 v9, 1, v9
	v_lshlrev_b32_e32 v10, 2, v9
	ds_read_b32 v10, v10 offset:1024
	v_add_u32_e32 v11, 1, v9
	s_waitcnt lgkmcnt(0)
	v_cmp_lt_i32_e32 vcc, v10, v5
	s_nop 1
	v_cndmask_b32_e32 v3, v3, v11, vcc
	v_cndmask_b32_e32 v7, v9, v7, vcc
	v_cmp_ge_i32_e32 vcc, v3, v7
	s_or_b64 s[4:5], vcc, s[4:5]
	s_andn2_b64 exec, exec, s[4:5]
	s_cbranch_execnz .LBB23_235
; %bb.236:
	s_or_b64 exec, exec, s[4:5]
.LBB23_237:
	s_or_b64 exec, exec, s[0:1]
	v_mov_b32_e32 v7, 0
	v_cmp_lt_i32_e32 vcc, 0, v6
	v_mov_b32_e32 v9, v6
	s_and_saveexec_b64 s[0:1], vcc
	s_cbranch_execnz .LBB23_242
; %bb.238:
	s_or_b64 exec, exec, s[0:1]
	v_cmp_lt_i32_e32 vcc, v7, v9
	s_and_saveexec_b64 s[0:1], vcc
	s_cbranch_execnz .LBB23_243
.LBB23_239:
	s_or_b64 exec, exec, s[0:1]
	v_cmp_lt_i32_e32 vcc, v7, v9
	s_and_saveexec_b64 s[0:1], vcc
	s_cbranch_execnz .LBB23_244
.LBB23_240:
	s_or_b64 exec, exec, s[0:1]
	v_cmp_lt_i32_e32 vcc, v7, v9
	s_and_saveexec_b64 s[0:1], vcc
	s_cbranch_execnz .LBB23_245
.LBB23_241:
	s_or_b64 exec, exec, s[0:1]
	v_cmp_lt_i32_e32 vcc, v7, v9
	s_and_saveexec_b64 s[0:1], vcc
	s_cbranch_execnz .LBB23_246
	s_branch .LBB23_249
.LBB23_242:
	s_movk_i32 s4, 0x1ff
	v_mul_lo_u32 v7, v6, s4
	v_lshrrev_b32_e32 v9, 9, v7
	v_lshl_add_u32 v7, v9, 2, v2
	ds_read_b32 v7, v7 offset:1024
	v_add_u32_e32 v10, 1, v9
	s_waitcnt lgkmcnt(0)
	v_cmp_lt_i32_e32 vcc, v7, v5
	s_nop 1
	v_cndmask_b32_e32 v7, 0, v10, vcc
	v_cndmask_b32_e32 v9, v9, v6, vcc
	s_or_b64 exec, exec, s[0:1]
	v_cmp_lt_i32_e32 vcc, v7, v9
	s_and_saveexec_b64 s[0:1], vcc
	s_cbranch_execz .LBB23_239
.LBB23_243:
	v_sub_u32_e32 v10, v7, v9
	v_lshl_add_u32 v10, v9, 7, v10
	v_ashrrev_i32_e32 v10, 7, v10
	v_lshl_add_u32 v11, v10, 2, v2
	ds_read_b32 v11, v11 offset:1024
	v_add_u32_e32 v12, 1, v10
	s_waitcnt lgkmcnt(0)
	v_cmp_lt_i32_e32 vcc, v11, v5
	s_nop 1
	v_cndmask_b32_e32 v7, v7, v12, vcc
	v_cndmask_b32_e32 v9, v10, v9, vcc
	s_or_b64 exec, exec, s[0:1]
	v_cmp_lt_i32_e32 vcc, v7, v9
	s_and_saveexec_b64 s[0:1], vcc
	s_cbranch_execz .LBB23_240
.LBB23_244:
	v_sub_u32_e32 v10, v7, v9
	v_lshl_add_u32 v10, v9, 5, v10
	v_ashrrev_i32_e32 v10, 5, v10
	v_lshl_add_u32 v11, v10, 2, v2
	ds_read_b32 v11, v11 offset:1024
	v_add_u32_e32 v12, 1, v10
	s_waitcnt lgkmcnt(0)
	v_cmp_lt_i32_e32 vcc, v11, v5
	s_nop 1
	v_cndmask_b32_e32 v7, v7, v12, vcc
	v_cndmask_b32_e32 v9, v10, v9, vcc
	s_or_b64 exec, exec, s[0:1]
	v_cmp_lt_i32_e32 vcc, v7, v9
	s_and_saveexec_b64 s[0:1], vcc
	s_cbranch_execz .LBB23_241
.LBB23_245:
	v_sub_u32_e32 v10, v7, v9
	v_lshl_add_u32 v10, v9, 4, v10
	v_ashrrev_i32_e32 v10, 4, v10
	v_lshl_add_u32 v11, v10, 2, v2
	ds_read_b32 v11, v11 offset:1024
	v_add_u32_e32 v12, 1, v10
	s_waitcnt lgkmcnt(0)
	v_cmp_lt_i32_e32 vcc, v11, v5
	s_nop 1
	v_cndmask_b32_e32 v7, v7, v12, vcc
	v_cndmask_b32_e32 v9, v10, v9, vcc
	s_or_b64 exec, exec, s[0:1]
	v_cmp_lt_i32_e32 vcc, v7, v9
	s_and_saveexec_b64 s[0:1], vcc
	s_cbranch_execz .LBB23_249
.LBB23_246:
	s_mov_b64 s[4:5], 0
.LBB23_247:                             ; =>This Inner Loop Header: Depth=1
	v_sub_u32_e32 v10, v7, v9
	v_lshl_add_u32 v10, v9, 1, v10
	v_ashrrev_i32_e32 v10, 1, v10
	v_lshl_add_u32 v11, v10, 2, v2
	ds_read_b32 v11, v11 offset:1024
	v_add_u32_e32 v12, 1, v10
	s_waitcnt lgkmcnt(0)
	v_cmp_lt_i32_e32 vcc, v11, v5
	s_nop 1
	v_cndmask_b32_e32 v7, v7, v12, vcc
	v_cndmask_b32_e32 v9, v10, v9, vcc
	v_cmp_ge_i32_e32 vcc, v7, v9
	s_or_b64 s[4:5], vcc, s[4:5]
	s_andn2_b64 exec, exec, s[4:5]
	s_cbranch_execnz .LBB23_247
; %bb.248:
	s_or_b64 exec, exec, s[4:5]
.LBB23_249:
	s_or_b64 exec, exec, s[0:1]
	v_sub_u32_e32 v0, v0, v3
	v_sub_u32_e32 v10, v6, v7
	v_add_u32_e32 v9, v10, v0
	v_ashrrev_i32_e32 v0, 1, v9
	v_max_i32_e32 v0, v0, v10
	v_add3_u32 v7, v7, v0, 1
	v_min_i32_e32 v7, v7, v27
	v_sub_u32_e32 v7, v7, v6
	v_mov_b32_e32 v6, 0
	v_cmp_lt_i32_e32 vcc, 0, v7
	s_and_saveexec_b64 s[0:1], vcc
	s_cbranch_execz .LBB23_253
; %bb.250:
	v_mov_b32_e32 v6, 0
	s_mov_b64 s[4:5], 0
.LBB23_251:                             ; =>This Inner Loop Header: Depth=1
	v_add_u32_e32 v11, v6, v7
	v_lshrrev_b32_e32 v11, 1, v11
	v_lshl_add_u32 v12, v11, 2, v4
	ds_read_b32 v12, v12 offset:1024
	v_add_u32_e32 v13, 1, v11
	s_waitcnt lgkmcnt(0)
	v_cmp_lt_i32_e32 vcc, v5, v12
	s_nop 1
	v_cndmask_b32_e32 v6, v13, v6, vcc
	v_cndmask_b32_e32 v7, v7, v11, vcc
	v_cmp_ge_i32_e32 vcc, v6, v7
	s_or_b64 s[4:5], vcc, s[4:5]
	s_andn2_b64 exec, exec, s[4:5]
	s_cbranch_execnz .LBB23_251
; %bb.252:
	s_or_b64 exec, exec, s[4:5]
.LBB23_253:
	s_or_b64 exec, exec, s[0:1]
	v_add_u32_e32 v4, v6, v10
	s_waitcnt lgkmcnt(0)
	v_min_i32_e32 v5, v4, v0
	v_sub_u32_e32 v6, v9, v5
	v_add_u32_e32 v5, 1, v5
	v_cmp_eq_u32_e32 vcc, v6, v5
	v_cmp_lt_i32_e64 s[0:1], v0, v4
	s_and_b64 s[0:1], s[0:1], vcc
	v_add_u32_e32 v0, v6, v3
	v_cndmask_b32_e64 v4, 0, 1, s[0:1]
.LBB23_254:
	s_or_b64 exec, exec, s[2:3]
	v_add_u32_e32 v1, v4, v1
	v_sub_u32_e32 v1, v1, v0
	v_lshlrev_b32_e32 v3, 16, v26
	v_or_b32_e32 v3, v3, v27
	v_lshl_or_b32 v4, v0, 16, v1
	v_subrev_co_u32_e64 v5, s[0:1], 1, v16
	v_lshl_add_u32 v7, v1, 2, v2
	s_nop 0
	v_cndmask_b32_e64 v3, v4, v3, s[0:1]
	v_mov_b32_e32 v4, 0xff
	v_cndmask_b32_e64 v4, v5, v4, s[0:1]
	v_lshlrev_b32_e32 v4, 2, v4
	v_lshlrev_b32_e32 v5, 2, v0
	ds_write_b32 v4, v3
	s_waitcnt lgkmcnt(0)
	s_barrier
	ds_read_b32 v24, v5 offset:1024
	ds_read_b32 v3, v7 offset:1024
	ds_read_b32 v2, v8
	v_mov_b32_e32 v4, v0
	s_waitcnt lgkmcnt(2)
	v_mov_b32_e32 v9, v24
	s_waitcnt lgkmcnt(1)
	v_cmp_ge_i32_e32 vcc, v3, v24
	s_and_saveexec_b64 s[2:3], vcc
; %bb.255:
	ds_read_b32 v9, v5 offset:1028
	v_add_u32_e32 v4, 1, v0
; %bb.256:
	s_or_b64 exec, exec, s[2:3]
	v_add_u32_e32 v5, v1, v26
	v_cmp_ge_i32_e32 vcc, v24, v3
	v_mov_b32_e32 v6, v3
	s_and_saveexec_b64 s[2:3], vcc
; %bb.257:
	ds_read_b32 v6, v7 offset:1028
	v_add_u32_e32 v5, 1, v5
; %bb.258:
	s_or_b64 exec, exec, s[2:3]
	s_waitcnt lgkmcnt(0)
	v_cmp_ge_i32_e32 vcc, v6, v9
	v_mov_b32_e32 v25, v9
	v_mov_b32_e32 v7, v4
	s_and_saveexec_b64 s[2:3], vcc
; %bb.259:
	v_lshlrev_b32_e32 v7, 2, v4
	ds_read_b32 v25, v7 offset:1028
	v_add_u32_e32 v7, 1, v4
; %bb.260:
	s_or_b64 exec, exec, s[2:3]
	v_cmp_ge_i32_e32 vcc, v9, v6
	v_mov_b32_e32 v10, v6
	v_mov_b32_e32 v11, v5
	s_and_saveexec_b64 s[2:3], vcc
; %bb.261:
	v_lshlrev_b32_e32 v10, 2, v5
	ds_read_b32 v10, v10 offset:1028
	v_add_u32_e32 v11, 1, v5
; %bb.262:
	s_or_b64 exec, exec, s[2:3]
	s_waitcnt lgkmcnt(0)
	v_cmp_ge_i32_e32 vcc, v10, v25
	v_mov_b32_e32 v27, v25
	v_mov_b32_e32 v12, v7
	s_and_saveexec_b64 s[2:3], vcc
; %bb.263:
	v_lshlrev_b32_e32 v12, 2, v7
	ds_read_b32 v27, v12 offset:1028
	v_add_u32_e32 v12, 1, v7
; %bb.264:
	s_or_b64 exec, exec, s[2:3]
	v_cmp_ge_i32_e32 vcc, v25, v10
	v_mov_b32_e32 v13, v10
	v_mov_b32_e32 v14, v11
	s_and_saveexec_b64 s[2:3], vcc
; %bb.265:
	v_lshlrev_b32_e32 v13, 2, v11
	;; [unrolled: 21-line block ×14, first 2 shown]
	ds_read_b32 v68, v67 offset:1028
	v_add_u32_e32 v67, 1, v65
; %bb.314:
	s_or_b64 exec, exec, s[2:3]
	v_add_u32_sdwa v26, v2, v26 dst_sel:DWORD dst_unused:UNUSED_PAD src0_sel:WORD_0 src1_sel:DWORD
	v_cmp_ge_i32_sdwa s[4:5], v66, sext(v2) src0_sel:DWORD src1_sel:WORD_1
	v_cmp_ge_i32_e64 s[2:3], v67, v26
	s_waitcnt lgkmcnt(0)
	v_cmp_ne_u32_e32 vcc, v68, v39
	s_or_b64 s[2:3], s[4:5], s[2:3]
	v_mov_b32_e32 v66, 0x8000
	s_or_b64 s[2:3], vcc, s[2:3]
	v_cndmask_b32_e64 v66, v66, 0, s[2:3]
	v_cmp_ge_i32_sdwa s[4:5], v63, sext(v2) src0_sel:DWORD src1_sel:WORD_1
	v_cmp_ge_i32_e64 s[2:3], v65, v26
	v_cmp_ne_u32_e32 vcc, v64, v38
	s_or_b64 s[2:3], s[4:5], s[2:3]
	v_mov_b32_e32 v63, 0x4000
	s_or_b64 s[2:3], vcc, s[2:3]
	v_cndmask_b32_e64 v63, v63, 0, s[2:3]
	v_cmp_ge_i32_sdwa s[4:5], v60, sext(v2) src0_sel:DWORD src1_sel:WORD_1
	v_cmp_ge_i32_e64 s[2:3], v62, v26
	;; [unrolled: 7-line block ×9, first 2 shown]
	v_cmp_ne_u32_e32 vcc, v40, v30
	s_or_b64 s[2:3], s[4:5], s[2:3]
	s_or_b64 s[2:3], vcc, s[2:3]
	v_cndmask_b32_e64 v23, 64, 0, s[2:3]
	v_cmp_ge_i32_sdwa s[4:5], v20, sext(v2) src0_sel:DWORD src1_sel:WORD_1
	v_cmp_ge_i32_e64 s[2:3], v22, v26
	v_cmp_ne_u32_e32 vcc, v21, v29
	s_or_b64 s[2:3], s[4:5], s[2:3]
	s_or_b64 s[10:11], vcc, s[2:3]
	v_cmp_ge_i32_sdwa s[6:7], v15, sext(v2) src0_sel:DWORD src1_sel:WORD_1
	v_cmp_ge_i32_e64 s[2:3], v19, v26
	v_cmp_ne_u32_e32 vcc, v18, v28
	s_or_b64 s[2:3], s[6:7], s[2:3]
	s_or_b64 s[16:17], vcc, s[2:3]
	;; [unrolled: 5-line block ×5, first 2 shown]
	v_cmp_gt_i32_sdwa s[2:3], sext(v2), v0 src0_sel:WORD_1 src1_sel:DWORD
	v_cmp_gt_i32_sdwa s[6:7], v2, v1 src0_sel:WORD_0 src1_sel:DWORD
	v_cmp_eq_u32_e32 vcc, v3, v24
	s_and_b64 s[2:3], s[2:3], s[6:7]
	s_and_b64 s[22:23], s[2:3], vcc
	v_cndmask_b32_e64 v7, 4, 0, s[20:21]
	v_cndmask_b32_e64 v4, 2, 0, s[24:25]
	;; [unrolled: 1-line block ×5, first 2 shown]
	v_or3_b32 v0, v4, v0, v7
	v_cndmask_b32_e64 v20, 32, 0, s[10:11]
	v_or3_b32 v0, v0, v12, v15
	v_or3_b32 v44, v0, v20, v23
	v_or_b32_e32 v43, v42, v44
	v_or3_b32 v42, v45, v48, v43
	v_or3_b32 v41, v51, v54, v42
	;; [unrolled: 1-line block ×4, first 2 shown]
	s_mov_b64 s[4:5], -1
	v_bcnt_u32_b32 v10, v26, 0
	v_mov_b32_e32 v11, 0
	s_cmp_lg_u32 s14, 0
	v_mbcnt_lo_u32_b32 v45, -1, 0
	s_barrier
	s_cbranch_scc0 .LBB23_342
; %bb.315:
	v_mbcnt_hi_u32_b32 v22, -1, v45
	v_mov_b32_dpp v0, v10 row_shr:1 row_mask:0xf bank_mask:0xf
	v_mov_b32_e32 v1, v11
	v_and_b32_e32 v4, 15, v22
	v_mov_b32_dpp v3, v11 row_shr:1 row_mask:0xf bank_mask:0xf
	v_mov_b32_e32 v2, v11
	v_lshl_add_u64 v[0:1], v[0:1], 0, v[10:11]
	v_lshl_add_u64 v[2:3], v[2:3], 0, v[0:1]
	v_cmp_eq_u32_e32 vcc, 0, v4
	v_and_b32_e32 v7, 16, v22
	v_cmp_eq_u32_e64 s[2:3], 0, v22
	v_cndmask_b32_e64 v1, v3, 0, vcc
	v_cndmask_b32_e32 v5, v0, v10, vcc
	v_cndmask_b32_e32 v0, v2, v10, vcc
	v_mov_b32_dpp v3, v1 row_shr:2 row_mask:0xf bank_mask:0xf
	v_mov_b32_dpp v2, v5 row_shr:2 row_mask:0xf bank_mask:0xf
	v_lshl_add_u64 v[2:3], v[2:3], 0, v[0:1]
	v_cmp_lt_u32_e32 vcc, 1, v4
	v_cmp_ne_u32_e64 s[4:5], 0, v22
	s_nop 0
	v_cndmask_b32_e32 v1, v1, v3, vcc
	v_cndmask_b32_e32 v5, v5, v2, vcc
	;; [unrolled: 1-line block ×3, first 2 shown]
	v_mov_b32_dpp v3, v1 row_shr:4 row_mask:0xf bank_mask:0xf
	v_mov_b32_dpp v2, v5 row_shr:4 row_mask:0xf bank_mask:0xf
	v_lshl_add_u64 v[2:3], v[2:3], 0, v[0:1]
	v_cmp_lt_u32_e32 vcc, 3, v4
	s_nop 1
	v_cndmask_b32_e32 v1, v1, v3, vcc
	v_cndmask_b32_e32 v5, v5, v2, vcc
	;; [unrolled: 1-line block ×3, first 2 shown]
	v_mov_b32_dpp v3, v1 row_shr:8 row_mask:0xf bank_mask:0xf
	v_mov_b32_dpp v2, v5 row_shr:8 row_mask:0xf bank_mask:0xf
	v_lshl_add_u64 v[2:3], v[2:3], 0, v[0:1]
	v_cmp_lt_u32_e32 vcc, 7, v4
	s_nop 1
	v_cndmask_b32_e32 v3, v1, v3, vcc
	v_cndmask_b32_e32 v6, v5, v2, vcc
	;; [unrolled: 1-line block ×3, first 2 shown]
	v_mov_b32_dpp v1, v3 row_bcast:15 row_mask:0xf bank_mask:0xf
	v_mov_b32_dpp v0, v6 row_bcast:15 row_mask:0xf bank_mask:0xf
	v_lshl_add_u64 v[4:5], v[0:1], 0, v[2:3]
	v_cmp_eq_u32_e32 vcc, 0, v7
	s_nop 1
	v_cndmask_b32_e32 v0, v5, v3, vcc
	v_cndmask_b32_e32 v1, v4, v6, vcc
	s_nop 0
	v_mov_b32_dpp v7, v0 row_bcast:31 row_mask:0xf bank_mask:0xf
	v_mov_b32_dpp v6, v1 row_bcast:31 row_mask:0xf bank_mask:0xf
	v_mov_b64_e32 v[0:1], v[10:11]
	s_and_saveexec_b64 s[6:7], s[4:5]
; %bb.316:
	v_cndmask_b32_e32 v1, v5, v3, vcc
	v_cndmask_b32_e32 v0, v4, v2, vcc
	v_cmp_lt_u32_e32 vcc, 31, v22
	s_nop 1
	v_cndmask_b32_e32 v3, 0, v7, vcc
	v_cndmask_b32_e32 v2, 0, v6, vcc
	v_lshl_add_u64 v[0:1], v[2:3], 0, v[0:1]
; %bb.317:
	s_or_b64 exec, exec, s[6:7]
	v_and_b32_e32 v3, 0x3c0, v16
	v_min_u32_e32 v3, 0xc0, v3
	v_or_b32_e32 v3, 63, v3
	v_lshrrev_b32_e32 v2, 6, v16
	v_cmp_eq_u32_e32 vcc, v16, v3
	s_and_saveexec_b64 s[4:5], vcc
; %bb.318:
	v_lshlrev_b32_e32 v3, 3, v2
	ds_write_b64 v3, v[0:1]
; %bb.319:
	s_or_b64 exec, exec, s[4:5]
	v_cmp_gt_u32_e32 vcc, 4, v16
	s_waitcnt lgkmcnt(0)
	s_barrier
	s_and_saveexec_b64 s[6:7], vcc
	s_cbranch_execz .LBB23_321
; %bb.320:
	v_lshlrev_b32_e32 v3, 3, v16
	ds_read_b64 v[4:5], v3
	v_mov_b32_e32 v6, 0
	v_mov_b32_e32 v13, v6
	v_and_b32_e32 v14, 3, v22
	v_cmp_eq_u32_e32 vcc, 0, v14
	s_waitcnt lgkmcnt(0)
	v_mov_b32_dpp v12, v4 row_shr:1 row_mask:0xf bank_mask:0xf
	v_mov_b32_dpp v7, v5 row_shr:1 row_mask:0xf bank_mask:0xf
	v_lshl_add_u64 v[12:13], v[4:5], 0, v[12:13]
	v_lshl_add_u64 v[6:7], v[6:7], 0, v[12:13]
	v_cndmask_b32_e32 v13, v7, v5, vcc
	v_cndmask_b32_e32 v12, v12, v4, vcc
	v_cmp_ne_u32_e64 s[4:5], 1, v14
	v_mov_b32_dpp v13, v13 row_shr:2 row_mask:0xf bank_mask:0xf
	v_mov_b32_dpp v12, v12 row_shr:2 row_mask:0xf bank_mask:0xf
	v_cndmask_b32_e64 v12, 0, v12, s[4:5]
	v_cndmask_b32_e64 v13, 0, v13, s[4:5]
	v_lshl_add_u64 v[6:7], v[12:13], 0, v[6:7]
	v_cndmask_b32_e32 v5, v7, v5, vcc
	v_cndmask_b32_e32 v4, v6, v4, vcc
	ds_write_b64 v3, v[4:5]
.LBB23_321:
	s_or_b64 exec, exec, s[6:7]
	v_cmp_gt_u32_e32 vcc, 64, v16
	v_cmp_lt_u32_e64 s[4:5], 63, v16
	s_waitcnt lgkmcnt(0)
	s_barrier
                                        ; implicit-def: $vgpr12_vgpr13
	s_and_saveexec_b64 s[6:7], s[4:5]
	s_cbranch_execz .LBB23_323
; %bb.322:
	v_lshl_add_u32 v2, v2, 3, -8
	ds_read_b64 v[12:13], v2
	s_waitcnt lgkmcnt(0)
	v_lshl_add_u64 v[0:1], v[12:13], 0, v[0:1]
.LBB23_323:
	s_or_b64 exec, exec, s[6:7]
	v_add_u32_e32 v1, -1, v22
	v_and_b32_e32 v2, 64, v22
	v_cmp_lt_i32_e64 s[4:5], v1, v2
	s_nop 1
	v_cndmask_b32_e64 v1, v1, v22, s[4:5]
	v_lshlrev_b32_e32 v1, 2, v1
	ds_bpermute_b32 v46, v1, v0
	s_and_saveexec_b64 s[26:27], vcc
	s_cbranch_execz .LBB23_347
; %bb.324:
	v_mov_b32_e32 v3, 0
	ds_read_b64 v[0:1], v3 offset:24
	s_and_saveexec_b64 s[4:5], s[2:3]
	s_cbranch_execz .LBB23_326
; %bb.325:
	s_add_i32 s6, s14, 64
	s_mov_b32 s7, 0
	s_lshl_b64 s[6:7], s[6:7], 4
	s_add_u32 s6, s12, s6
	s_addc_u32 s7, s13, s7
	v_mov_b32_e32 v2, 1
	v_mov_b64_e32 v[4:5], s[6:7]
	s_waitcnt lgkmcnt(0)
	;;#ASMSTART
	global_store_dwordx4 v[4:5], v[0:3] off sc1	
s_waitcnt vmcnt(0)
	;;#ASMEND
.LBB23_326:
	s_or_b64 exec, exec, s[4:5]
	v_xad_u32 v14, v22, -1, s14
	v_add_u32_e32 v2, 64, v14
	v_lshl_add_u64 v[18:19], v[2:3], 4, s[12:13]
	;;#ASMSTART
	global_load_dwordx4 v[4:7], v[18:19] off sc1	
s_waitcnt vmcnt(0)
	;;#ASMEND
	s_nop 0
	v_cmp_eq_u16_sdwa s[6:7], v6, v3 src0_sel:BYTE_0 src1_sel:DWORD
	s_and_saveexec_b64 s[4:5], s[6:7]
	s_cbranch_execz .LBB23_330
; %bb.327:
	s_mov_b64 s[6:7], 0
	v_mov_b32_e32 v2, 0
.LBB23_328:                             ; =>This Inner Loop Header: Depth=1
	;;#ASMSTART
	global_load_dwordx4 v[4:7], v[18:19] off sc1	
s_waitcnt vmcnt(0)
	;;#ASMEND
	s_nop 0
	v_cmp_ne_u16_sdwa s[28:29], v6, v2 src0_sel:BYTE_0 src1_sel:DWORD
	s_or_b64 s[6:7], s[28:29], s[6:7]
	s_andn2_b64 exec, exec, s[6:7]
	s_cbranch_execnz .LBB23_328
; %bb.329:
	s_or_b64 exec, exec, s[6:7]
.LBB23_330:
	s_or_b64 exec, exec, s[4:5]
	v_mov_b32_e32 v47, 2
	v_cmp_eq_u16_sdwa s[4:5], v6, v47 src0_sel:BYTE_0 src1_sel:DWORD
	v_lshlrev_b64 v[18:19], v22, -1
	v_and_b32_e32 v48, 63, v22
	v_and_b32_e32 v2, s5, v19
	v_or_b32_e32 v2, 0x80000000, v2
	v_and_b32_e32 v3, s4, v18
	v_ffbl_b32_e32 v2, v2
	v_add_u32_e32 v2, 32, v2
	v_ffbl_b32_e32 v3, v3
	v_cmp_ne_u32_e32 vcc, 63, v48
	v_min_u32_e32 v7, v3, v2
	v_mov_b32_e32 v15, 0
	v_addc_co_u32_e32 v2, vcc, 0, v22, vcc
	v_lshlrev_b32_e32 v49, 2, v2
	ds_bpermute_b32 v2, v49, v4
	ds_bpermute_b32 v21, v49, v5
	v_mov_b32_e32 v3, v15
	v_mov_b32_e32 v20, v15
	v_cmp_lt_u32_e64 s[4:5], v48, v7
	s_waitcnt lgkmcnt(1)
	v_lshl_add_u64 v[2:3], v[4:5], 0, v[2:3]
	v_cmp_gt_u32_e32 vcc, 62, v48
	s_waitcnt lgkmcnt(0)
	v_lshl_add_u64 v[20:21], v[20:21], 0, v[2:3]
	v_cndmask_b32_e64 v23, v4, v2, s[4:5]
	v_cndmask_b32_e64 v2, 0, 2, vcc
	v_cndmask_b32_e64 v3, v5, v21, s[4:5]
	v_add_lshl_u32 v50, v2, v22, 2
	ds_bpermute_b32 v52, v50, v23
	ds_bpermute_b32 v53, v50, v3
	v_cndmask_b32_e64 v2, v4, v20, s[4:5]
	v_add_u32_e32 v51, 2, v48
	v_cmp_gt_u32_e32 vcc, v51, v7
	v_cmp_gt_u32_e64 s[6:7], 60, v48
	s_waitcnt lgkmcnt(0)
	v_lshl_add_u64 v[20:21], v[52:53], 0, v[2:3]
	v_cndmask_b32_e32 v3, v21, v3, vcc
	v_cndmask_b32_e64 v21, 0, 4, s[6:7]
	v_cndmask_b32_e32 v23, v20, v23, vcc
	v_add_lshl_u32 v52, v21, v22, 2
	ds_bpermute_b32 v54, v52, v23
	ds_bpermute_b32 v55, v52, v3
	v_cndmask_b32_e32 v2, v20, v2, vcc
	v_add_u32_e32 v53, 4, v48
	v_cmp_gt_u32_e32 vcc, v53, v7
	v_cmp_gt_u32_e64 s[6:7], 56, v48
	s_waitcnt lgkmcnt(0)
	v_lshl_add_u64 v[20:21], v[54:55], 0, v[2:3]
	v_cndmask_b32_e32 v3, v21, v3, vcc
	v_cndmask_b32_e64 v21, 0, 8, s[6:7]
	v_cndmask_b32_e32 v23, v20, v23, vcc
	v_add_lshl_u32 v54, v21, v22, 2
	ds_bpermute_b32 v56, v54, v23
	ds_bpermute_b32 v57, v54, v3
	v_cndmask_b32_e32 v2, v20, v2, vcc
	;; [unrolled: 12-line block ×3, first 2 shown]
	v_add_u32_e32 v57, 16, v48
	v_cmp_gt_u32_e32 vcc, v57, v7
	s_waitcnt lgkmcnt(0)
	v_lshl_add_u64 v[20:21], v[58:59], 0, v[2:3]
	v_mov_b32_e32 v58, 0x80
	v_cndmask_b32_e32 v59, v21, v3, vcc
	v_cndmask_b32_e32 v23, v20, v23, vcc
	v_lshl_or_b32 v58, v22, 2, v58
	ds_bpermute_b32 v22, v58, v23
	ds_bpermute_b32 v23, v58, v59
	v_add_u32_e32 v59, 32, v48
	s_and_saveexec_b64 s[6:7], s[4:5]
	s_cbranch_execz .LBB23_332
; %bb.331:
	v_cndmask_b32_e32 v3, v21, v3, vcc
	v_cndmask_b32_e32 v2, v20, v2, vcc
	v_cmp_le_u32_e32 vcc, v59, v7
	s_waitcnt lgkmcnt(0)
	s_nop 0
	v_cndmask_b32_e32 v5, 0, v23, vcc
	v_cndmask_b32_e32 v4, 0, v22, vcc
	v_lshl_add_u64 v[4:5], v[4:5], 0, v[2:3]
.LBB23_332:
	s_or_b64 exec, exec, s[6:7]
	s_branch .LBB23_335
.LBB23_333:                             ;   in Loop: Header=BB23_335 Depth=1
	s_or_b64 exec, exec, s[6:7]
	v_subrev_u32_e32 v14, 64, v14
	v_lshl_add_u64 v[4:5], v[4:5], 0, v[2:3]
	s_mov_b64 s[4:5], 0
.LBB23_334:                             ;   in Loop: Header=BB23_335 Depth=1
	s_and_b64 vcc, exec, s[4:5]
	s_cbranch_vccnz .LBB23_343
.LBB23_335:                             ; =>This Loop Header: Depth=1
                                        ;     Child Loop BB23_338 Depth 2
	v_cmp_ne_u16_sdwa s[4:5], v6, v47 src0_sel:BYTE_0 src1_sel:DWORD
	v_mov_b64_e32 v[2:3], v[4:5]
	s_cmp_lg_u64 s[4:5], exec
	s_mov_b64 s[4:5], -1
                                        ; implicit-def: $vgpr4_vgpr5
	s_cbranch_scc1 .LBB23_334
; %bb.336:                              ;   in Loop: Header=BB23_335 Depth=1
	v_lshl_add_u64 v[20:21], v[14:15], 4, s[12:13]
	;;#ASMSTART
	global_load_dwordx4 v[4:7], v[20:21] off sc1	
s_waitcnt vmcnt(0)
	;;#ASMEND
	s_nop 0
	v_cmp_eq_u16_sdwa s[6:7], v6, v15 src0_sel:BYTE_0 src1_sel:DWORD
	s_and_saveexec_b64 s[4:5], s[6:7]
	s_cbranch_execz .LBB23_340
; %bb.337:                              ;   in Loop: Header=BB23_335 Depth=1
	s_mov_b64 s[6:7], 0
.LBB23_338:                             ;   Parent Loop BB23_335 Depth=1
                                        ; =>  This Inner Loop Header: Depth=2
	;;#ASMSTART
	global_load_dwordx4 v[4:7], v[20:21] off sc1	
s_waitcnt vmcnt(0)
	;;#ASMEND
	s_nop 0
	v_cmp_ne_u16_sdwa s[28:29], v6, v15 src0_sel:BYTE_0 src1_sel:DWORD
	s_or_b64 s[6:7], s[28:29], s[6:7]
	s_andn2_b64 exec, exec, s[6:7]
	s_cbranch_execnz .LBB23_338
; %bb.339:                              ;   in Loop: Header=BB23_335 Depth=1
	s_or_b64 exec, exec, s[6:7]
.LBB23_340:                             ;   in Loop: Header=BB23_335 Depth=1
	s_or_b64 exec, exec, s[4:5]
	v_cmp_eq_u16_sdwa s[4:5], v6, v47 src0_sel:BYTE_0 src1_sel:DWORD
	s_waitcnt lgkmcnt(0)
	ds_bpermute_b32 v23, v49, v5
	v_mov_b32_e32 v22, v15
	v_and_b32_e32 v20, s4, v18
	v_and_b32_e32 v7, s5, v19
	v_ffbl_b32_e32 v21, v20
	ds_bpermute_b32 v20, v49, v4
	v_or_b32_e32 v7, 0x80000000, v7
	v_ffbl_b32_e32 v7, v7
	v_add_u32_e32 v7, 32, v7
	v_min_u32_e32 v7, v21, v7
	v_mov_b32_e32 v21, v15
	s_waitcnt lgkmcnt(0)
	v_lshl_add_u64 v[20:21], v[4:5], 0, v[20:21]
	v_lshl_add_u64 v[22:23], v[22:23], 0, v[20:21]
	v_cmp_lt_u32_e64 s[4:5], v48, v7
	v_cmp_gt_u32_e32 vcc, v51, v7
	s_nop 0
	v_cndmask_b32_e64 v62, v4, v20, s[4:5]
	v_cndmask_b32_e64 v21, v5, v23, s[4:5]
	ds_bpermute_b32 v60, v50, v62
	ds_bpermute_b32 v61, v50, v21
	v_cndmask_b32_e64 v20, v4, v22, s[4:5]
	s_waitcnt lgkmcnt(0)
	v_lshl_add_u64 v[22:23], v[60:61], 0, v[20:21]
	v_cndmask_b32_e32 v62, v22, v62, vcc
	v_cndmask_b32_e32 v21, v23, v21, vcc
	ds_bpermute_b32 v60, v52, v62
	ds_bpermute_b32 v61, v52, v21
	v_cndmask_b32_e32 v20, v22, v20, vcc
	v_cmp_gt_u32_e32 vcc, v53, v7
	s_waitcnt lgkmcnt(0)
	v_lshl_add_u64 v[22:23], v[60:61], 0, v[20:21]
	v_cndmask_b32_e32 v62, v22, v62, vcc
	v_cndmask_b32_e32 v21, v23, v21, vcc
	ds_bpermute_b32 v60, v54, v62
	ds_bpermute_b32 v61, v54, v21
	v_cndmask_b32_e32 v20, v22, v20, vcc
	v_cmp_gt_u32_e32 vcc, v55, v7
	;; [unrolled: 8-line block ×3, first 2 shown]
	s_waitcnt lgkmcnt(0)
	v_lshl_add_u64 v[22:23], v[60:61], 0, v[20:21]
	v_cndmask_b32_e32 v61, v23, v21, vcc
	v_cndmask_b32_e32 v60, v22, v62, vcc
	ds_bpermute_b32 v60, v58, v60
	ds_bpermute_b32 v61, v58, v61
	s_and_saveexec_b64 s[6:7], s[4:5]
	s_cbranch_execz .LBB23_333
; %bb.341:                              ;   in Loop: Header=BB23_335 Depth=1
	v_cndmask_b32_e32 v5, v23, v21, vcc
	v_cndmask_b32_e32 v4, v22, v20, vcc
	v_cmp_le_u32_e32 vcc, v59, v7
	s_waitcnt lgkmcnt(0)
	s_nop 0
	v_cndmask_b32_e32 v21, 0, v61, vcc
	v_cndmask_b32_e32 v20, 0, v60, vcc
	v_lshl_add_u64 v[4:5], v[20:21], 0, v[4:5]
	s_branch .LBB23_333
.LBB23_342:
                                        ; implicit-def: $vgpr2_vgpr3
                                        ; implicit-def: $vgpr4_vgpr5
	s_and_b64 vcc, exec, s[4:5]
	s_cbranch_vccnz .LBB23_348
	s_branch .LBB23_359
.LBB23_343:
	s_and_saveexec_b64 s[4:5], s[2:3]
	s_cbranch_execz .LBB23_345
; %bb.344:
	s_add_i32 s6, s14, 64
	s_mov_b32 s7, 0
	s_lshl_b64 s[6:7], s[6:7], 4
	s_add_u32 s6, s12, s6
	s_addc_u32 s7, s13, s7
	v_lshl_add_u64 v[4:5], v[2:3], 0, v[0:1]
	v_mov_b32_e32 v6, 2
	v_mov_b32_e32 v7, 0
	v_mov_b64_e32 v[14:15], s[6:7]
	;;#ASMSTART
	global_store_dwordx4 v[14:15], v[4:7] off sc1	
s_waitcnt vmcnt(0)
	;;#ASMEND
	ds_write_b128 v7, v[0:3] offset:32
.LBB23_345:
	s_or_b64 exec, exec, s[4:5]
	s_and_b64 exec, exec, s[0:1]
; %bb.346:
	v_mov_b32_e32 v0, 0
	ds_write_b64 v0, v[2:3] offset:24
.LBB23_347:
	s_or_b64 exec, exec, s[26:27]
	v_mov_b32_e32 v0, 0
	s_waitcnt lgkmcnt(0)
	s_barrier
	ds_read_b64 v[4:5], v0 offset:24
	s_waitcnt lgkmcnt(0)
	s_barrier
	ds_read_b128 v[0:3], v0 offset:32
	v_cndmask_b32_e64 v6, v46, v12, s[2:3]
	v_cndmask_b32_e64 v7, 0, v13, s[2:3]
	;; [unrolled: 1-line block ×4, first 2 shown]
	v_lshl_add_u64 v[4:5], v[4:5], 0, v[6:7]
	s_branch .LBB23_359
.LBB23_348:
	s_waitcnt lgkmcnt(0)
	v_mov_b32_e32 v0, 0
	v_mbcnt_hi_u32_b32 v4, -1, v45
	v_mov_b32_dpp v2, v10 row_shr:1 row_mask:0xf bank_mask:0xf
	v_mov_b32_e32 v3, v0
	v_and_b32_e32 v5, 15, v4
	v_mov_b32_dpp v1, v0 row_shr:1 row_mask:0xf bank_mask:0xf
	v_lshl_add_u64 v[2:3], v[2:3], 0, v[10:11]
	v_lshl_add_u64 v[0:1], v[0:1], 0, v[2:3]
	v_cmp_eq_u32_e32 vcc, 0, v5
	v_cmp_ne_u32_e64 s[4:5], 0, v4
	s_nop 0
	v_cndmask_b32_e64 v1, v1, 0, vcc
	v_cndmask_b32_e32 v6, v2, v10, vcc
	v_cndmask_b32_e32 v0, v0, v10, vcc
	v_mov_b32_dpp v3, v1 row_shr:2 row_mask:0xf bank_mask:0xf
	v_mov_b32_dpp v2, v6 row_shr:2 row_mask:0xf bank_mask:0xf
	v_lshl_add_u64 v[2:3], v[2:3], 0, v[0:1]
	v_cmp_lt_u32_e32 vcc, 1, v5
	s_nop 1
	v_cndmask_b32_e32 v1, v1, v3, vcc
	v_cndmask_b32_e32 v6, v6, v2, vcc
	v_cndmask_b32_e32 v0, v0, v2, vcc
	v_mov_b32_dpp v3, v1 row_shr:4 row_mask:0xf bank_mask:0xf
	v_mov_b32_dpp v2, v6 row_shr:4 row_mask:0xf bank_mask:0xf
	v_lshl_add_u64 v[2:3], v[2:3], 0, v[0:1]
	v_cmp_lt_u32_e32 vcc, 3, v5
	s_nop 1
	v_cndmask_b32_e32 v1, v1, v3, vcc
	;; [unrolled: 8-line block ×3, first 2 shown]
	v_cndmask_b32_e32 v5, v6, v2, vcc
	v_cndmask_b32_e32 v0, v0, v2, vcc
	v_mov_b32_dpp v3, v1 row_bcast:15 row_mask:0xf bank_mask:0xf
	v_mov_b32_dpp v2, v5 row_bcast:15 row_mask:0xf bank_mask:0xf
	v_and_b32_e32 v6, 16, v4
	v_lshl_add_u64 v[2:3], v[2:3], 0, v[0:1]
	v_cmp_eq_u32_e64 s[2:3], 0, v6
	v_cmp_eq_u32_e32 vcc, 0, v4
	s_nop 0
	v_cndmask_b32_e64 v6, v3, v1, s[2:3]
	v_cndmask_b32_e64 v5, v2, v5, s[2:3]
	s_nop 0
	v_mov_b32_dpp v6, v6 row_bcast:31 row_mask:0xf bank_mask:0xf
	v_mov_b32_dpp v5, v5 row_bcast:31 row_mask:0xf bank_mask:0xf
	s_and_saveexec_b64 s[6:7], s[4:5]
; %bb.349:
	v_cndmask_b32_e64 v1, v3, v1, s[2:3]
	v_cndmask_b32_e64 v0, v2, v0, s[2:3]
	v_cmp_lt_u32_e64 s[2:3], 31, v4
	s_nop 1
	v_cndmask_b32_e64 v3, 0, v6, s[2:3]
	v_cndmask_b32_e64 v2, 0, v5, s[2:3]
	v_lshl_add_u64 v[10:11], v[2:3], 0, v[0:1]
; %bb.350:
	s_or_b64 exec, exec, s[6:7]
	v_and_b32_e32 v1, 0x3c0, v16
	v_min_u32_e32 v1, 0xc0, v1
	v_or_b32_e32 v1, 63, v1
	v_lshrrev_b32_e32 v0, 6, v16
	v_cmp_eq_u32_e64 s[2:3], v16, v1
	s_and_saveexec_b64 s[4:5], s[2:3]
; %bb.351:
	v_lshlrev_b32_e32 v1, 3, v0
	ds_write_b64 v1, v[10:11]
; %bb.352:
	s_or_b64 exec, exec, s[4:5]
	v_cmp_gt_u32_e64 s[2:3], 4, v16
	s_waitcnt lgkmcnt(0)
	s_barrier
	s_and_saveexec_b64 s[6:7], s[2:3]
	s_cbranch_execz .LBB23_354
; %bb.353:
	v_lshl_add_u32 v1, v16, 2, v8
	ds_read_b64 v[2:3], v1
	v_mov_b32_e32 v6, 0
	v_mov_b32_e32 v13, v6
	v_and_b32_e32 v5, 3, v4
	v_cmp_eq_u32_e64 s[2:3], 0, v5
	s_waitcnt lgkmcnt(0)
	v_mov_b32_dpp v12, v2 row_shr:1 row_mask:0xf bank_mask:0xf
	v_mov_b32_dpp v7, v3 row_shr:1 row_mask:0xf bank_mask:0xf
	v_lshl_add_u64 v[12:13], v[2:3], 0, v[12:13]
	v_lshl_add_u64 v[6:7], v[6:7], 0, v[12:13]
	v_cndmask_b32_e64 v8, v7, v3, s[2:3]
	v_cndmask_b32_e64 v11, v12, v2, s[2:3]
	v_cmp_ne_u32_e64 s[4:5], 1, v5
	v_mov_b32_dpp v8, v8 row_shr:2 row_mask:0xf bank_mask:0xf
	v_mov_b32_dpp v11, v11 row_shr:2 row_mask:0xf bank_mask:0xf
	v_cndmask_b32_e64 v12, 0, v11, s[4:5]
	v_cndmask_b32_e64 v13, 0, v8, s[4:5]
	v_lshl_add_u64 v[6:7], v[12:13], 0, v[6:7]
	v_cndmask_b32_e64 v3, v7, v3, s[2:3]
	v_cndmask_b32_e64 v2, v6, v2, s[2:3]
	ds_write_b64 v1, v[2:3]
.LBB23_354:
	s_or_b64 exec, exec, s[6:7]
	v_cmp_lt_u32_e64 s[2:3], 63, v16
	v_mov_b64_e32 v[2:3], 0
	s_waitcnt lgkmcnt(0)
	s_barrier
	s_and_saveexec_b64 s[4:5], s[2:3]
; %bb.355:
	v_lshl_add_u32 v0, v0, 3, -8
	ds_read_b64 v[2:3], v0
; %bb.356:
	s_or_b64 exec, exec, s[4:5]
	v_add_u32_e32 v1, -1, v4
	s_waitcnt lgkmcnt(0)
	v_and_b32_e32 v3, 64, v4
	v_cmp_lt_i32_e64 s[2:3], v1, v3
	v_add_u32_e32 v0, v2, v10
	v_mov_b32_e32 v3, 0
	v_cndmask_b32_e64 v1, v1, v4, s[2:3]
	v_lshlrev_b32_e32 v1, 2, v1
	ds_bpermute_b32 v4, v1, v0
	ds_read_b64 v[0:1], v3 offset:24
	s_waitcnt lgkmcnt(1)
	v_cndmask_b32_e32 v4, v4, v2, vcc
	s_and_saveexec_b64 s[2:3], s[0:1]
	s_cbranch_execz .LBB23_358
; %bb.357:
	s_add_u32 s0, s12, 0x400
	s_addc_u32 s1, s13, 0
	v_mov_b32_e32 v2, 2
	v_mov_b64_e32 v[6:7], s[0:1]
	s_waitcnt lgkmcnt(0)
	;;#ASMSTART
	global_store_dwordx4 v[6:7], v[0:3] off sc1	
s_waitcnt vmcnt(0)
	;;#ASMEND
.LBB23_358:
	s_or_b64 exec, exec, s[2:3]
	v_mov_b64_e32 v[2:3], 0
.LBB23_359:
	s_xor_b64 s[0:1], s[10:11], -1
	s_xor_b64 s[2:3], s[16:17], -1
	;; [unrolled: 1-line block ×5, first 2 shown]
	s_waitcnt lgkmcnt(0)
	v_sub_u32_e32 v1, v4, v2
	s_barrier
	s_and_saveexec_b64 s[12:13], s[22:23]
	s_cbranch_execnz .LBB23_397
; %bb.360:
	s_or_b64 exec, exec, s[12:13]
	s_and_saveexec_b64 s[12:13], s[10:11]
	s_cbranch_execnz .LBB23_398
.LBB23_361:
	s_or_b64 exec, exec, s[12:13]
	s_and_saveexec_b64 s[10:11], s[6:7]
	s_cbranch_execnz .LBB23_399
.LBB23_362:
	s_or_b64 exec, exec, s[10:11]
	s_and_saveexec_b64 s[6:7], s[4:5]
	s_cbranch_execnz .LBB23_400
.LBB23_363:
	s_or_b64 exec, exec, s[6:7]
	s_and_saveexec_b64 s[4:5], s[2:3]
	s_cbranch_execnz .LBB23_401
.LBB23_364:
	s_or_b64 exec, exec, s[4:5]
	s_and_saveexec_b64 s[2:3], s[0:1]
.LBB23_365:
	v_lshlrev_b32_e32 v4, 2, v1
	v_add_u32_e32 v1, 1, v1
	ds_write_b32 v4, v29 offset:1024
.LBB23_366:
	s_or_b64 exec, exec, s[2:3]
	v_and_b32_e32 v4, 64, v44
	v_cmp_ne_u32_e32 vcc, 0, v4
	s_and_saveexec_b64 s[0:1], vcc
; %bb.367:
	v_lshlrev_b32_e32 v4, 2, v1
	v_add_u32_e32 v1, 1, v1
	ds_write_b32 v4, v30 offset:1024
; %bb.368:
	s_or_b64 exec, exec, s[0:1]
	v_and_b32_e32 v4, 0x80, v43
	v_cmp_ne_u32_e32 vcc, 0, v4
	s_and_saveexec_b64 s[0:1], vcc
; %bb.369:
	v_lshlrev_b32_e32 v4, 2, v1
	v_add_u32_e32 v1, 1, v1
	ds_write_b32 v4, v31 offset:1024
; %bb.370:
	;; [unrolled: 9-line block ×9, first 2 shown]
	s_or_b64 exec, exec, s[0:1]
	v_and_b32_e32 v4, 0x8000, v26
	v_cmp_ne_u32_e32 vcc, 0, v4
	s_and_saveexec_b64 s[0:1], vcc
; %bb.385:
	v_lshlrev_b32_e32 v1, 2, v1
	ds_write_b32 v1, v39 offset:1024
; %bb.386:
	s_or_b64 exec, exec, s[0:1]
	v_cmp_lt_i32_e32 vcc, v16, v0
	s_waitcnt lgkmcnt(0)
	s_barrier
	s_and_saveexec_b64 s[0:1], vcc
	s_cbranch_execz .LBB23_396
; %bb.387:
	v_xad_u32 v1, v16, -1, v0
	s_movk_i32 s0, 0xff
	v_cmp_lt_u32_e32 vcc, s0, v1
	s_mov_b64 s[2:3], -1
	v_lshlrev_b64 v[2:3], 2, v[2:3]
	s_and_saveexec_b64 s[0:1], vcc
	s_cbranch_execz .LBB23_393
; %bb.388:
	v_lshrrev_b32_e32 v1, 8, v1
	v_add_u32_e32 v10, 1, v1
	v_and_b32_e32 v1, 0x1fffffe, v10
	v_add_u32_e32 v17, 0x100, v16
	v_mov_b32_e32 v6, 0x400
	v_lshl_add_u64 v[4:5], s[8:9], 0, v[2:3]
	v_lshl_add_u32 v11, v16, 2, v6
	s_mov_b64 s[2:3], 0
	v_mov_b32_e32 v7, 0
	v_mov_b32_e32 v12, v1
	v_mov_b64_e32 v[8:9], v[16:17]
.LBB23_389:                             ; =>This Inner Loop Header: Depth=1
	ds_read2st64_b32 v[14:15], v11 offset1:4
	v_add_u32_e32 v12, -2, v12
	v_mov_b32_e32 v6, v8
	v_cmp_eq_u32_e32 vcc, 0, v12
	v_add_u32_e32 v8, 0x200, v8
	v_add_u32_e32 v11, 0x800, v11
	v_lshl_add_u64 v[18:19], v[6:7], 2, v[4:5]
	v_mov_b32_e32 v6, v9
	v_add_u32_e32 v9, 0x200, v9
	s_or_b64 s[2:3], vcc, s[2:3]
	v_lshl_add_u64 v[20:21], v[6:7], 2, v[4:5]
	s_waitcnt lgkmcnt(0)
	global_store_dword v[18:19], v14, off
	global_store_dword v[20:21], v15, off
	s_andn2_b64 exec, exec, s[2:3]
	s_cbranch_execnz .LBB23_389
; %bb.390:
	s_or_b64 exec, exec, s[2:3]
	v_cmp_ne_u32_e32 vcc, v10, v1
	s_mov_b64 s[2:3], 0
	s_and_saveexec_b64 s[4:5], vcc
; %bb.391:
	s_mov_b64 s[2:3], exec
	v_lshl_add_u32 v16, v1, 8, v16
	v_mov_b32_e32 v17, 0
; %bb.392:
	s_or_b64 exec, exec, s[4:5]
	s_orn2_b64 s[2:3], s[2:3], exec
.LBB23_393:
	s_or_b64 exec, exec, s[0:1]
	s_and_b64 exec, exec, s[2:3]
	s_cbranch_execz .LBB23_396
; %bb.394:
	v_mov_b32_e32 v1, 0x400
	v_lshl_add_u64 v[2:3], s[8:9], 0, v[2:3]
	v_lshl_add_u32 v1, v16, 2, v1
	v_lshl_add_u64 v[2:3], v[16:17], 2, v[2:3]
	s_mov_b64 s[0:1], 0
	s_mov_b64 s[2:3], 0x400
.LBB23_395:                             ; =>This Inner Loop Header: Depth=1
	ds_read_b32 v4, v1
	v_add_u32_e32 v16, 0x100, v16
	v_cmp_ge_i32_e32 vcc, v16, v0
	v_add_u32_e32 v1, 0x400, v1
	s_or_b64 s[0:1], vcc, s[0:1]
	s_waitcnt lgkmcnt(0)
	global_store_dword v[2:3], v4, off
	v_lshl_add_u64 v[2:3], v[2:3], 0, s[2:3]
	s_andn2_b64 exec, exec, s[0:1]
	s_cbranch_execnz .LBB23_395
.LBB23_396:
	s_endpgm
.LBB23_397:
	v_lshlrev_b32_e32 v4, 2, v1
	v_add_u32_e32 v1, 1, v1
	ds_write_b32 v4, v24 offset:1024
	s_or_b64 exec, exec, s[12:13]
	s_and_saveexec_b64 s[12:13], s[10:11]
	s_cbranch_execz .LBB23_361
.LBB23_398:
	v_lshlrev_b32_e32 v4, 2, v1
	v_add_u32_e32 v1, 1, v1
	ds_write_b32 v4, v9 offset:1024
	s_or_b64 exec, exec, s[12:13]
	s_and_saveexec_b64 s[10:11], s[6:7]
	s_cbranch_execz .LBB23_362
.LBB23_399:
	v_lshlrev_b32_e32 v4, 2, v1
	v_add_u32_e32 v1, 1, v1
	ds_write_b32 v4, v25 offset:1024
	s_or_b64 exec, exec, s[10:11]
	s_and_saveexec_b64 s[6:7], s[4:5]
	s_cbranch_execz .LBB23_363
.LBB23_400:
	v_lshlrev_b32_e32 v4, 2, v1
	v_add_u32_e32 v1, 1, v1
	ds_write_b32 v4, v27 offset:1024
	s_or_b64 exec, exec, s[6:7]
	s_and_saveexec_b64 s[4:5], s[2:3]
	s_cbranch_execz .LBB23_364
.LBB23_401:
	v_lshlrev_b32_e32 v4, 2, v1
	v_add_u32_e32 v1, 1, v1
	ds_write_b32 v4, v28 offset:1024
	s_or_b64 exec, exec, s[4:5]
	s_and_saveexec_b64 s[2:3], s[0:1]
	s_cbranch_execnz .LBB23_365
	s_branch .LBB23_366
	.section	.rodata,"a",@progbits
	.p2align	6, 0x0
	.amdhsa_kernel _ZN6thrust23THRUST_200600_302600_NS11hip_rocprim16__set_operations22lookback_set_op_kernelIN7rocprim17ROCPRIM_400000_NS13kernel_configILj256ELj16ELj4294967295EEELb0ENS0_6detail15normal_iteratorINS0_10device_ptrIKiEEEESD_PiSE_lNS9_INSA_IiEEEESE_NS0_4lessIiEENS2_23serial_set_intersectionENS5_6detail19lookback_scan_stateIlLb0ELb1EEEEEvT1_T2_T3_T4_T6_T7_T8_T9_PNS0_4pairIT5_SW_EEPSW_T10_NSK_16ordered_block_idIjEE
		.amdhsa_group_segment_fixed_size 36868
		.amdhsa_private_segment_fixed_size 0
		.amdhsa_kernarg_size 344
		.amdhsa_user_sgpr_count 2
		.amdhsa_user_sgpr_dispatch_ptr 0
		.amdhsa_user_sgpr_queue_ptr 0
		.amdhsa_user_sgpr_kernarg_segment_ptr 1
		.amdhsa_user_sgpr_dispatch_id 0
		.amdhsa_user_sgpr_kernarg_preload_length 0
		.amdhsa_user_sgpr_kernarg_preload_offset 0
		.amdhsa_user_sgpr_private_segment_size 0
		.amdhsa_uses_dynamic_stack 0
		.amdhsa_enable_private_segment 0
		.amdhsa_system_sgpr_workgroup_id_x 1
		.amdhsa_system_sgpr_workgroup_id_y 0
		.amdhsa_system_sgpr_workgroup_id_z 0
		.amdhsa_system_sgpr_workgroup_info 0
		.amdhsa_system_vgpr_workitem_id 2
		.amdhsa_next_free_vgpr 97
		.amdhsa_next_free_sgpr 96
		.amdhsa_accum_offset 76
		.amdhsa_reserve_vcc 1
		.amdhsa_float_round_mode_32 0
		.amdhsa_float_round_mode_16_64 0
		.amdhsa_float_denorm_mode_32 3
		.amdhsa_float_denorm_mode_16_64 3
		.amdhsa_dx10_clamp 1
		.amdhsa_ieee_mode 1
		.amdhsa_fp16_overflow 0
		.amdhsa_tg_split 0
		.amdhsa_exception_fp_ieee_invalid_op 0
		.amdhsa_exception_fp_denorm_src 0
		.amdhsa_exception_fp_ieee_div_zero 0
		.amdhsa_exception_fp_ieee_overflow 0
		.amdhsa_exception_fp_ieee_underflow 0
		.amdhsa_exception_fp_ieee_inexact 0
		.amdhsa_exception_int_div_zero 0
	.end_amdhsa_kernel
	.section	.text._ZN6thrust23THRUST_200600_302600_NS11hip_rocprim16__set_operations22lookback_set_op_kernelIN7rocprim17ROCPRIM_400000_NS13kernel_configILj256ELj16ELj4294967295EEELb0ENS0_6detail15normal_iteratorINS0_10device_ptrIKiEEEESD_PiSE_lNS9_INSA_IiEEEESE_NS0_4lessIiEENS2_23serial_set_intersectionENS5_6detail19lookback_scan_stateIlLb0ELb1EEEEEvT1_T2_T3_T4_T6_T7_T8_T9_PNS0_4pairIT5_SW_EEPSW_T10_NSK_16ordered_block_idIjEE,"axG",@progbits,_ZN6thrust23THRUST_200600_302600_NS11hip_rocprim16__set_operations22lookback_set_op_kernelIN7rocprim17ROCPRIM_400000_NS13kernel_configILj256ELj16ELj4294967295EEELb0ENS0_6detail15normal_iteratorINS0_10device_ptrIKiEEEESD_PiSE_lNS9_INSA_IiEEEESE_NS0_4lessIiEENS2_23serial_set_intersectionENS5_6detail19lookback_scan_stateIlLb0ELb1EEEEEvT1_T2_T3_T4_T6_T7_T8_T9_PNS0_4pairIT5_SW_EEPSW_T10_NSK_16ordered_block_idIjEE,comdat
.Lfunc_end23:
	.size	_ZN6thrust23THRUST_200600_302600_NS11hip_rocprim16__set_operations22lookback_set_op_kernelIN7rocprim17ROCPRIM_400000_NS13kernel_configILj256ELj16ELj4294967295EEELb0ENS0_6detail15normal_iteratorINS0_10device_ptrIKiEEEESD_PiSE_lNS9_INSA_IiEEEESE_NS0_4lessIiEENS2_23serial_set_intersectionENS5_6detail19lookback_scan_stateIlLb0ELb1EEEEEvT1_T2_T3_T4_T6_T7_T8_T9_PNS0_4pairIT5_SW_EEPSW_T10_NSK_16ordered_block_idIjEE, .Lfunc_end23-_ZN6thrust23THRUST_200600_302600_NS11hip_rocprim16__set_operations22lookback_set_op_kernelIN7rocprim17ROCPRIM_400000_NS13kernel_configILj256ELj16ELj4294967295EEELb0ENS0_6detail15normal_iteratorINS0_10device_ptrIKiEEEESD_PiSE_lNS9_INSA_IiEEEESE_NS0_4lessIiEENS2_23serial_set_intersectionENS5_6detail19lookback_scan_stateIlLb0ELb1EEEEEvT1_T2_T3_T4_T6_T7_T8_T9_PNS0_4pairIT5_SW_EEPSW_T10_NSK_16ordered_block_idIjEE
                                        ; -- End function
	.set _ZN6thrust23THRUST_200600_302600_NS11hip_rocprim16__set_operations22lookback_set_op_kernelIN7rocprim17ROCPRIM_400000_NS13kernel_configILj256ELj16ELj4294967295EEELb0ENS0_6detail15normal_iteratorINS0_10device_ptrIKiEEEESD_PiSE_lNS9_INSA_IiEEEESE_NS0_4lessIiEENS2_23serial_set_intersectionENS5_6detail19lookback_scan_stateIlLb0ELb1EEEEEvT1_T2_T3_T4_T6_T7_T8_T9_PNS0_4pairIT5_SW_EEPSW_T10_NSK_16ordered_block_idIjEE.num_vgpr, 73
	.set _ZN6thrust23THRUST_200600_302600_NS11hip_rocprim16__set_operations22lookback_set_op_kernelIN7rocprim17ROCPRIM_400000_NS13kernel_configILj256ELj16ELj4294967295EEELb0ENS0_6detail15normal_iteratorINS0_10device_ptrIKiEEEESD_PiSE_lNS9_INSA_IiEEEESE_NS0_4lessIiEENS2_23serial_set_intersectionENS5_6detail19lookback_scan_stateIlLb0ELb1EEEEEvT1_T2_T3_T4_T6_T7_T8_T9_PNS0_4pairIT5_SW_EEPSW_T10_NSK_16ordered_block_idIjEE.num_agpr, 0
	.set _ZN6thrust23THRUST_200600_302600_NS11hip_rocprim16__set_operations22lookback_set_op_kernelIN7rocprim17ROCPRIM_400000_NS13kernel_configILj256ELj16ELj4294967295EEELb0ENS0_6detail15normal_iteratorINS0_10device_ptrIKiEEEESD_PiSE_lNS9_INSA_IiEEEESE_NS0_4lessIiEENS2_23serial_set_intersectionENS5_6detail19lookback_scan_stateIlLb0ELb1EEEEEvT1_T2_T3_T4_T6_T7_T8_T9_PNS0_4pairIT5_SW_EEPSW_T10_NSK_16ordered_block_idIjEE.numbered_sgpr, 32
	.set _ZN6thrust23THRUST_200600_302600_NS11hip_rocprim16__set_operations22lookback_set_op_kernelIN7rocprim17ROCPRIM_400000_NS13kernel_configILj256ELj16ELj4294967295EEELb0ENS0_6detail15normal_iteratorINS0_10device_ptrIKiEEEESD_PiSE_lNS9_INSA_IiEEEESE_NS0_4lessIiEENS2_23serial_set_intersectionENS5_6detail19lookback_scan_stateIlLb0ELb1EEEEEvT1_T2_T3_T4_T6_T7_T8_T9_PNS0_4pairIT5_SW_EEPSW_T10_NSK_16ordered_block_idIjEE.num_named_barrier, 0
	.set _ZN6thrust23THRUST_200600_302600_NS11hip_rocprim16__set_operations22lookback_set_op_kernelIN7rocprim17ROCPRIM_400000_NS13kernel_configILj256ELj16ELj4294967295EEELb0ENS0_6detail15normal_iteratorINS0_10device_ptrIKiEEEESD_PiSE_lNS9_INSA_IiEEEESE_NS0_4lessIiEENS2_23serial_set_intersectionENS5_6detail19lookback_scan_stateIlLb0ELb1EEEEEvT1_T2_T3_T4_T6_T7_T8_T9_PNS0_4pairIT5_SW_EEPSW_T10_NSK_16ordered_block_idIjEE.private_seg_size, 0
	.set _ZN6thrust23THRUST_200600_302600_NS11hip_rocprim16__set_operations22lookback_set_op_kernelIN7rocprim17ROCPRIM_400000_NS13kernel_configILj256ELj16ELj4294967295EEELb0ENS0_6detail15normal_iteratorINS0_10device_ptrIKiEEEESD_PiSE_lNS9_INSA_IiEEEESE_NS0_4lessIiEENS2_23serial_set_intersectionENS5_6detail19lookback_scan_stateIlLb0ELb1EEEEEvT1_T2_T3_T4_T6_T7_T8_T9_PNS0_4pairIT5_SW_EEPSW_T10_NSK_16ordered_block_idIjEE.uses_vcc, 1
	.set _ZN6thrust23THRUST_200600_302600_NS11hip_rocprim16__set_operations22lookback_set_op_kernelIN7rocprim17ROCPRIM_400000_NS13kernel_configILj256ELj16ELj4294967295EEELb0ENS0_6detail15normal_iteratorINS0_10device_ptrIKiEEEESD_PiSE_lNS9_INSA_IiEEEESE_NS0_4lessIiEENS2_23serial_set_intersectionENS5_6detail19lookback_scan_stateIlLb0ELb1EEEEEvT1_T2_T3_T4_T6_T7_T8_T9_PNS0_4pairIT5_SW_EEPSW_T10_NSK_16ordered_block_idIjEE.uses_flat_scratch, 0
	.set _ZN6thrust23THRUST_200600_302600_NS11hip_rocprim16__set_operations22lookback_set_op_kernelIN7rocprim17ROCPRIM_400000_NS13kernel_configILj256ELj16ELj4294967295EEELb0ENS0_6detail15normal_iteratorINS0_10device_ptrIKiEEEESD_PiSE_lNS9_INSA_IiEEEESE_NS0_4lessIiEENS2_23serial_set_intersectionENS5_6detail19lookback_scan_stateIlLb0ELb1EEEEEvT1_T2_T3_T4_T6_T7_T8_T9_PNS0_4pairIT5_SW_EEPSW_T10_NSK_16ordered_block_idIjEE.has_dyn_sized_stack, 0
	.set _ZN6thrust23THRUST_200600_302600_NS11hip_rocprim16__set_operations22lookback_set_op_kernelIN7rocprim17ROCPRIM_400000_NS13kernel_configILj256ELj16ELj4294967295EEELb0ENS0_6detail15normal_iteratorINS0_10device_ptrIKiEEEESD_PiSE_lNS9_INSA_IiEEEESE_NS0_4lessIiEENS2_23serial_set_intersectionENS5_6detail19lookback_scan_stateIlLb0ELb1EEEEEvT1_T2_T3_T4_T6_T7_T8_T9_PNS0_4pairIT5_SW_EEPSW_T10_NSK_16ordered_block_idIjEE.has_recursion, 0
	.set _ZN6thrust23THRUST_200600_302600_NS11hip_rocprim16__set_operations22lookback_set_op_kernelIN7rocprim17ROCPRIM_400000_NS13kernel_configILj256ELj16ELj4294967295EEELb0ENS0_6detail15normal_iteratorINS0_10device_ptrIKiEEEESD_PiSE_lNS9_INSA_IiEEEESE_NS0_4lessIiEENS2_23serial_set_intersectionENS5_6detail19lookback_scan_stateIlLb0ELb1EEEEEvT1_T2_T3_T4_T6_T7_T8_T9_PNS0_4pairIT5_SW_EEPSW_T10_NSK_16ordered_block_idIjEE.has_indirect_call, 0
	.section	.AMDGPU.csdata,"",@progbits
; Kernel info:
; codeLenInByte = 17240
; TotalNumSgprs: 38
; NumVgprs: 73
; NumAgprs: 0
; TotalNumVgprs: 73
; ScratchSize: 0
; MemoryBound: 0
; FloatMode: 240
; IeeeMode: 1
; LDSByteSize: 36868 bytes/workgroup (compile time only)
; SGPRBlocks: 12
; VGPRBlocks: 12
; NumSGPRsForWavesPerEU: 102
; NumVGPRsForWavesPerEU: 97
; AccumOffset: 76
; Occupancy: 4
; WaveLimiterHint : 1
; COMPUTE_PGM_RSRC2:SCRATCH_EN: 0
; COMPUTE_PGM_RSRC2:USER_SGPR: 2
; COMPUTE_PGM_RSRC2:TRAP_HANDLER: 0
; COMPUTE_PGM_RSRC2:TGID_X_EN: 1
; COMPUTE_PGM_RSRC2:TGID_Y_EN: 0
; COMPUTE_PGM_RSRC2:TGID_Z_EN: 0
; COMPUTE_PGM_RSRC2:TIDIG_COMP_CNT: 2
; COMPUTE_PGM_RSRC3_GFX90A:ACCUM_OFFSET: 18
; COMPUTE_PGM_RSRC3_GFX90A:TG_SPLIT: 0
	.section	.text._ZN6thrust23THRUST_200600_302600_NS11hip_rocprim14__parallel_for6kernelILj256EZNS1_16__set_operations9doit_stepILb0ENS0_6detail15normal_iteratorINS0_10device_ptrIKiEEEESB_PiSC_lNS7_INS8_IiEEEESC_NS0_4lessIiEENS4_21serial_set_differenceEEE10hipError_tPvRmT0_T1_T2_T3_T4_SP_T5_T6_PSP_T7_T8_P12ihipStream_tbEUllE_jLj1EEEvSL_SM_SM_,"axG",@progbits,_ZN6thrust23THRUST_200600_302600_NS11hip_rocprim14__parallel_for6kernelILj256EZNS1_16__set_operations9doit_stepILb0ENS0_6detail15normal_iteratorINS0_10device_ptrIKiEEEESB_PiSC_lNS7_INS8_IiEEEESC_NS0_4lessIiEENS4_21serial_set_differenceEEE10hipError_tPvRmT0_T1_T2_T3_T4_SP_T5_T6_PSP_T7_T8_P12ihipStream_tbEUllE_jLj1EEEvSL_SM_SM_,comdat
	.protected	_ZN6thrust23THRUST_200600_302600_NS11hip_rocprim14__parallel_for6kernelILj256EZNS1_16__set_operations9doit_stepILb0ENS0_6detail15normal_iteratorINS0_10device_ptrIKiEEEESB_PiSC_lNS7_INS8_IiEEEESC_NS0_4lessIiEENS4_21serial_set_differenceEEE10hipError_tPvRmT0_T1_T2_T3_T4_SP_T5_T6_PSP_T7_T8_P12ihipStream_tbEUllE_jLj1EEEvSL_SM_SM_ ; -- Begin function _ZN6thrust23THRUST_200600_302600_NS11hip_rocprim14__parallel_for6kernelILj256EZNS1_16__set_operations9doit_stepILb0ENS0_6detail15normal_iteratorINS0_10device_ptrIKiEEEESB_PiSC_lNS7_INS8_IiEEEESC_NS0_4lessIiEENS4_21serial_set_differenceEEE10hipError_tPvRmT0_T1_T2_T3_T4_SP_T5_T6_PSP_T7_T8_P12ihipStream_tbEUllE_jLj1EEEvSL_SM_SM_
	.globl	_ZN6thrust23THRUST_200600_302600_NS11hip_rocprim14__parallel_for6kernelILj256EZNS1_16__set_operations9doit_stepILb0ENS0_6detail15normal_iteratorINS0_10device_ptrIKiEEEESB_PiSC_lNS7_INS8_IiEEEESC_NS0_4lessIiEENS4_21serial_set_differenceEEE10hipError_tPvRmT0_T1_T2_T3_T4_SP_T5_T6_PSP_T7_T8_P12ihipStream_tbEUllE_jLj1EEEvSL_SM_SM_
	.p2align	8
	.type	_ZN6thrust23THRUST_200600_302600_NS11hip_rocprim14__parallel_for6kernelILj256EZNS1_16__set_operations9doit_stepILb0ENS0_6detail15normal_iteratorINS0_10device_ptrIKiEEEESB_PiSC_lNS7_INS8_IiEEEESC_NS0_4lessIiEENS4_21serial_set_differenceEEE10hipError_tPvRmT0_T1_T2_T3_T4_SP_T5_T6_PSP_T7_T8_P12ihipStream_tbEUllE_jLj1EEEvSL_SM_SM_,@function
_ZN6thrust23THRUST_200600_302600_NS11hip_rocprim14__parallel_for6kernelILj256EZNS1_16__set_operations9doit_stepILb0ENS0_6detail15normal_iteratorINS0_10device_ptrIKiEEEESB_PiSC_lNS7_INS8_IiEEEESC_NS0_4lessIiEENS4_21serial_set_differenceEEE10hipError_tPvRmT0_T1_T2_T3_T4_SP_T5_T6_PSP_T7_T8_P12ihipStream_tbEUllE_jLj1EEEvSL_SM_SM_: ; @_ZN6thrust23THRUST_200600_302600_NS11hip_rocprim14__parallel_for6kernelILj256EZNS1_16__set_operations9doit_stepILb0ENS0_6detail15normal_iteratorINS0_10device_ptrIKiEEEESB_PiSC_lNS7_INS8_IiEEEESC_NS0_4lessIiEENS4_21serial_set_differenceEEE10hipError_tPvRmT0_T1_T2_T3_T4_SP_T5_T6_PSP_T7_T8_P12ihipStream_tbEUllE_jLj1EEEvSL_SM_SM_
; %bb.0:
	s_load_dwordx2 s[14:15], s[0:1], 0x30
	s_load_dwordx2 s[12:13], s[0:1], 0x20
	s_load_dwordx8 s[4:11], s[0:1], 0x0
	s_lshl_b32 s0, s2, 8
	s_waitcnt lgkmcnt(0)
	s_add_i32 s18, s15, s0
	s_sub_i32 s2, s14, s18
	s_cmpk_gt_u32 s2, 0xff
	s_mov_b64 s[0:1], -1
	s_cbranch_scc0 .LBB24_3
; %bb.1:
	s_andn2_b64 vcc, exec, s[0:1]
	s_cbranch_vccz .LBB24_40
.LBB24_2:
	s_endpgm
.LBB24_3:
	v_cmp_gt_u32_e32 vcc, s2, v0
	s_and_saveexec_b64 s[2:3], vcc
	s_cbranch_execz .LBB24_39
; %bb.4:
	v_add_u32_e32 v4, s18, v0
	s_movk_i32 s0, 0xfff
	v_mad_u64_u32 v[2:3], s[0:1], v4, s0, 0
	s_add_u32 s0, s6, s4
	s_addc_u32 s1, s7, s5
	v_mov_b32_e32 v1, s1
	v_cmp_lt_i64_e32 vcc, s[0:1], v[2:3]
	v_mov_b32_e32 v5, 0
	s_nop 0
	v_cndmask_b32_e32 v7, v3, v1, vcc
	v_mov_b32_e32 v1, s0
	v_cndmask_b32_e32 v6, v2, v1, vcc
	v_mov_b32_e32 v1, s7
	v_subrev_co_u32_e32 v2, vcc, s6, v6
	s_mov_b64 s[0:1], 0
	s_nop 0
	v_subb_co_u32_e32 v3, vcc, v7, v1, vcc
	v_cmp_lt_i64_e32 vcc, 0, v[2:3]
	v_mov_b32_e32 v1, s5
	s_nop 0
	v_cndmask_b32_e32 v3, 0, v3, vcc
	v_cndmask_b32_e32 v2, 0, v2, vcc
	v_cmp_lt_i64_e32 vcc, s[4:5], v[6:7]
	s_nop 1
	v_cndmask_b32_e32 v9, v7, v1, vcc
	v_mov_b32_e32 v1, s4
	v_cndmask_b32_e32 v8, v6, v1, vcc
	v_cmp_lt_i64_e32 vcc, v[2:3], v[8:9]
	s_and_saveexec_b64 s[14:15], vcc
	s_cbranch_execz .LBB24_8
; %bb.5:
	v_lshl_add_u64 v[10:11], v[6:7], 2, s[12:13]
.LBB24_6:                               ; =>This Inner Loop Header: Depth=1
	v_lshl_add_u64 v[12:13], v[8:9], 0, v[2:3]
	v_lshrrev_b64 v[12:13], 1, v[12:13]
	v_lshlrev_b64 v[14:15], 2, v[12:13]
	v_lshl_add_u64 v[16:17], s[10:11], 0, v[14:15]
	v_xor_b32_e32 v15, -1, v15
	v_xor_b32_e32 v14, -4, v14
	v_lshl_add_u64 v[14:15], v[10:11], 0, v[14:15]
	global_load_dword v1, v[16:17], off
	s_nop 0
	global_load_dword v16, v[14:15], off
	v_lshl_add_u64 v[14:15], v[12:13], 0, 1
	s_waitcnt vmcnt(0)
	v_cmp_lt_i32_e32 vcc, v16, v1
	s_nop 1
	v_cndmask_b32_e32 v9, v9, v13, vcc
	v_cndmask_b32_e32 v8, v8, v12, vcc
	;; [unrolled: 1-line block ×4, first 2 shown]
	v_cmp_ge_i64_e32 vcc, v[2:3], v[8:9]
	s_or_b64 s[0:1], vcc, s[0:1]
	s_andn2_b64 exec, exec, s[0:1]
	s_cbranch_execnz .LBB24_6
; %bb.7:
	s_or_b64 exec, exec, s[0:1]
.LBB24_8:
	s_or_b64 exec, exec, s[14:15]
	v_sub_co_u32_e32 v12, vcc, v6, v2
	v_mov_b64_e32 v[10:11], 0
	s_nop 0
	v_subb_co_u32_e32 v13, vcc, v7, v3, vcc
	v_cmp_gt_i64_e32 vcc, s[6:7], v[12:13]
	s_and_saveexec_b64 s[14:15], vcc
	s_cbranch_execz .LBB24_38
; %bb.9:
	v_lshl_add_u64 v[10:11], v[12:13], 2, s[12:13]
	global_load_dword v1, v[10:11], off
	v_mov_b64_e32 v[8:9], 0
	v_cmp_lt_i64_e32 vcc, 0, v[2:3]
	v_mov_b64_e32 v[14:15], 0
	s_and_saveexec_b64 s[0:1], vcc
	s_cbranch_execnz .LBB24_14
; %bb.10:
	s_or_b64 exec, exec, s[0:1]
	v_cmp_lt_u64_e32 vcc, v[8:9], v[14:15]
	s_and_saveexec_b64 s[0:1], vcc
	s_cbranch_execnz .LBB24_15
.LBB24_11:
	s_or_b64 exec, exec, s[0:1]
	v_cmp_lt_u64_e32 vcc, v[8:9], v[14:15]
	s_and_saveexec_b64 s[0:1], vcc
	s_cbranch_execnz .LBB24_16
.LBB24_12:
	s_or_b64 exec, exec, s[0:1]
	v_cmp_lt_u64_e32 vcc, v[8:9], v[14:15]
	s_and_saveexec_b64 s[0:1], vcc
	s_cbranch_execnz .LBB24_17
.LBB24_13:
	s_or_b64 exec, exec, s[0:1]
	v_cmp_lt_u64_e32 vcc, v[8:9], v[14:15]
	s_and_saveexec_b64 s[0:1], vcc
	s_cbranch_execnz .LBB24_18
	s_branch .LBB24_21
.LBB24_14:
	s_movk_i32 s19, 0x1ff
	v_mad_u64_u32 v[8:9], s[16:17], v2, s19, 0
	v_mov_b32_e32 v14, v9
	v_mad_u64_u32 v[14:15], s[16:17], v3, s19, v[14:15]
	v_mov_b32_e32 v9, v14
	v_lshrrev_b64 v[14:15], 9, v[8:9]
	v_lshl_add_u64 v[8:9], v[14:15], 2, s[10:11]
	global_load_dword v16, v[8:9], off
	v_lshl_add_u64 v[8:9], v[14:15], 0, 1
	s_waitcnt vmcnt(0)
	v_cmp_lt_i32_e32 vcc, v16, v1
	s_nop 1
	v_cndmask_b32_e32 v9, 0, v9, vcc
	v_cndmask_b32_e32 v8, 0, v8, vcc
	;; [unrolled: 1-line block ×4, first 2 shown]
	s_or_b64 exec, exec, s[0:1]
	v_cmp_lt_u64_e32 vcc, v[8:9], v[14:15]
	s_and_saveexec_b64 s[0:1], vcc
	s_cbranch_execz .LBB24_11
.LBB24_15:
	s_movk_i32 s19, 0x7f
	v_mad_u64_u32 v[16:17], s[16:17], v14, s19, v[8:9]
	v_mov_b32_e32 v18, v17
	v_mad_u64_u32 v[18:19], s[16:17], v15, s19, v[18:19]
	v_mov_b32_e32 v17, v18
	v_lshrrev_b64 v[16:17], 7, v[16:17]
	v_lshl_add_u64 v[18:19], v[16:17], 2, s[10:11]
	global_load_dword v20, v[18:19], off
	v_lshl_add_u64 v[18:19], v[16:17], 0, 1
	s_waitcnt vmcnt(0)
	v_cmp_lt_i32_e32 vcc, v20, v1
	s_nop 1
	v_cndmask_b32_e32 v9, v9, v19, vcc
	v_cndmask_b32_e32 v8, v8, v18, vcc
	;; [unrolled: 1-line block ×4, first 2 shown]
	s_or_b64 exec, exec, s[0:1]
	v_cmp_lt_u64_e32 vcc, v[8:9], v[14:15]
	s_and_saveexec_b64 s[0:1], vcc
	s_cbranch_execz .LBB24_12
.LBB24_16:
	v_mad_u64_u32 v[16:17], s[16:17], v14, 31, v[8:9]
	v_mov_b32_e32 v18, v17
	v_mad_u64_u32 v[18:19], s[16:17], v15, 31, v[18:19]
	v_mov_b32_e32 v17, v18
	v_lshrrev_b64 v[16:17], 5, v[16:17]
	v_lshl_add_u64 v[18:19], v[16:17], 2, s[10:11]
	global_load_dword v20, v[18:19], off
	v_lshl_add_u64 v[18:19], v[16:17], 0, 1
	s_waitcnt vmcnt(0)
	v_cmp_lt_i32_e32 vcc, v20, v1
	s_nop 1
	v_cndmask_b32_e32 v9, v9, v19, vcc
	v_cndmask_b32_e32 v8, v8, v18, vcc
	;; [unrolled: 1-line block ×4, first 2 shown]
	s_or_b64 exec, exec, s[0:1]
	v_cmp_lt_u64_e32 vcc, v[8:9], v[14:15]
	s_and_saveexec_b64 s[0:1], vcc
	s_cbranch_execz .LBB24_13
.LBB24_17:
	v_mad_u64_u32 v[16:17], s[16:17], v14, 15, v[8:9]
	v_mov_b32_e32 v18, v17
	v_mad_u64_u32 v[18:19], s[16:17], v15, 15, v[18:19]
	v_mov_b32_e32 v17, v18
	v_lshrrev_b64 v[16:17], 4, v[16:17]
	v_lshl_add_u64 v[18:19], v[16:17], 2, s[10:11]
	global_load_dword v20, v[18:19], off
	v_lshl_add_u64 v[18:19], v[16:17], 0, 1
	s_waitcnt vmcnt(0)
	v_cmp_lt_i32_e32 vcc, v20, v1
	s_nop 1
	v_cndmask_b32_e32 v9, v9, v19, vcc
	v_cndmask_b32_e32 v8, v8, v18, vcc
	;; [unrolled: 1-line block ×4, first 2 shown]
	s_or_b64 exec, exec, s[0:1]
	v_cmp_lt_u64_e32 vcc, v[8:9], v[14:15]
	s_and_saveexec_b64 s[0:1], vcc
	s_cbranch_execz .LBB24_21
.LBB24_18:
	s_mov_b64 s[16:17], 0
.LBB24_19:                              ; =>This Inner Loop Header: Depth=1
	v_lshl_add_u64 v[16:17], v[8:9], 0, v[14:15]
	v_lshrrev_b64 v[16:17], 1, v[16:17]
	v_lshl_add_u64 v[18:19], v[16:17], 2, s[10:11]
	global_load_dword v20, v[18:19], off
	v_lshl_add_u64 v[18:19], v[16:17], 0, 1
	s_waitcnt vmcnt(0)
	v_cmp_lt_i32_e32 vcc, v20, v1
	s_nop 1
	v_cndmask_b32_e32 v9, v9, v19, vcc
	v_cndmask_b32_e32 v8, v8, v18, vcc
	;; [unrolled: 1-line block ×4, first 2 shown]
	v_cmp_ge_i64_e32 vcc, v[8:9], v[14:15]
	s_or_b64 s[16:17], vcc, s[16:17]
	s_andn2_b64 exec, exec, s[16:17]
	s_cbranch_execnz .LBB24_19
; %bb.20:
	s_or_b64 exec, exec, s[16:17]
.LBB24_21:
	s_or_b64 exec, exec, s[0:1]
	v_mov_b64_e32 v[14:15], 0
	v_cmp_lt_i64_e32 vcc, 0, v[12:13]
	v_mov_b64_e32 v[16:17], v[12:13]
	s_and_saveexec_b64 s[0:1], vcc
	s_cbranch_execnz .LBB24_26
; %bb.22:
	s_or_b64 exec, exec, s[0:1]
	v_cmp_lt_i64_e32 vcc, v[14:15], v[16:17]
	s_and_saveexec_b64 s[0:1], vcc
	s_cbranch_execnz .LBB24_27
.LBB24_23:
	s_or_b64 exec, exec, s[0:1]
	v_cmp_lt_i64_e32 vcc, v[14:15], v[16:17]
	s_and_saveexec_b64 s[0:1], vcc
	s_cbranch_execnz .LBB24_28
.LBB24_24:
	s_or_b64 exec, exec, s[0:1]
	v_cmp_lt_i64_e32 vcc, v[14:15], v[16:17]
	s_and_saveexec_b64 s[0:1], vcc
	s_cbranch_execnz .LBB24_29
.LBB24_25:
	s_or_b64 exec, exec, s[0:1]
	v_cmp_lt_i64_e32 vcc, v[14:15], v[16:17]
	s_and_saveexec_b64 s[0:1], vcc
	s_cbranch_execnz .LBB24_30
	s_branch .LBB24_33
.LBB24_26:
	s_movk_i32 s19, 0x1ff
	v_mad_u64_u32 v[14:15], s[16:17], v12, s19, 0
	v_mov_b32_e32 v16, v15
	v_mad_u64_u32 v[16:17], s[16:17], v13, s19, v[16:17]
	v_mov_b32_e32 v15, v16
	v_lshrrev_b64 v[16:17], 9, v[14:15]
	v_lshl_add_u64 v[14:15], v[16:17], 2, s[12:13]
	global_load_dword v18, v[14:15], off
	v_lshl_add_u64 v[14:15], v[16:17], 0, 1
	s_waitcnt vmcnt(0)
	v_cmp_lt_i32_e32 vcc, v18, v1
	s_nop 1
	v_cndmask_b32_e32 v15, 0, v15, vcc
	v_cndmask_b32_e32 v14, 0, v14, vcc
	v_cndmask_b32_e32 v17, v17, v13, vcc
	v_cndmask_b32_e32 v16, v16, v12, vcc
	s_or_b64 exec, exec, s[0:1]
	v_cmp_lt_i64_e32 vcc, v[14:15], v[16:17]
	s_and_saveexec_b64 s[0:1], vcc
	s_cbranch_execz .LBB24_23
.LBB24_27:
	s_movk_i32 s19, 0x7f
	v_mad_u64_u32 v[18:19], s[16:17], v16, s19, v[14:15]
	v_mov_b32_e32 v20, v19
	v_mad_u64_u32 v[20:21], s[16:17], v17, s19, v[20:21]
	v_mov_b32_e32 v19, v20
	v_lshrrev_b64 v[18:19], 7, v[18:19]
	v_lshl_add_u64 v[20:21], v[18:19], 2, s[12:13]
	global_load_dword v22, v[20:21], off
	v_lshl_add_u64 v[20:21], v[18:19], 0, 1
	s_waitcnt vmcnt(0)
	v_cmp_lt_i32_e32 vcc, v22, v1
	s_nop 1
	v_cndmask_b32_e32 v15, v15, v21, vcc
	v_cndmask_b32_e32 v14, v14, v20, vcc
	;; [unrolled: 1-line block ×4, first 2 shown]
	s_or_b64 exec, exec, s[0:1]
	v_cmp_lt_i64_e32 vcc, v[14:15], v[16:17]
	s_and_saveexec_b64 s[0:1], vcc
	s_cbranch_execz .LBB24_24
.LBB24_28:
	v_mad_u64_u32 v[18:19], s[16:17], v16, 31, v[14:15]
	v_mov_b32_e32 v20, v19
	v_mad_u64_u32 v[20:21], s[16:17], v17, 31, v[20:21]
	v_mov_b32_e32 v19, v20
	v_lshrrev_b64 v[18:19], 5, v[18:19]
	v_lshl_add_u64 v[20:21], v[18:19], 2, s[12:13]
	global_load_dword v22, v[20:21], off
	v_lshl_add_u64 v[20:21], v[18:19], 0, 1
	s_waitcnt vmcnt(0)
	v_cmp_lt_i32_e32 vcc, v22, v1
	s_nop 1
	v_cndmask_b32_e32 v15, v15, v21, vcc
	v_cndmask_b32_e32 v14, v14, v20, vcc
	;; [unrolled: 1-line block ×4, first 2 shown]
	s_or_b64 exec, exec, s[0:1]
	v_cmp_lt_i64_e32 vcc, v[14:15], v[16:17]
	s_and_saveexec_b64 s[0:1], vcc
	s_cbranch_execz .LBB24_25
.LBB24_29:
	v_mad_u64_u32 v[18:19], s[16:17], v16, 15, v[14:15]
	v_mov_b32_e32 v20, v19
	v_mad_u64_u32 v[20:21], s[16:17], v17, 15, v[20:21]
	v_mov_b32_e32 v19, v20
	v_lshrrev_b64 v[18:19], 4, v[18:19]
	v_lshl_add_u64 v[20:21], v[18:19], 2, s[12:13]
	global_load_dword v22, v[20:21], off
	v_lshl_add_u64 v[20:21], v[18:19], 0, 1
	s_waitcnt vmcnt(0)
	v_cmp_lt_i32_e32 vcc, v22, v1
	s_nop 1
	v_cndmask_b32_e32 v15, v15, v21, vcc
	v_cndmask_b32_e32 v14, v14, v20, vcc
	;; [unrolled: 1-line block ×4, first 2 shown]
	s_or_b64 exec, exec, s[0:1]
	v_cmp_lt_i64_e32 vcc, v[14:15], v[16:17]
	s_and_saveexec_b64 s[0:1], vcc
	s_cbranch_execz .LBB24_33
.LBB24_30:
	s_mov_b64 s[16:17], 0
.LBB24_31:                              ; =>This Inner Loop Header: Depth=1
	v_lshl_add_u64 v[18:19], v[14:15], 0, v[16:17]
	v_lshrrev_b64 v[18:19], 1, v[18:19]
	v_lshl_add_u64 v[20:21], v[18:19], 2, s[12:13]
	global_load_dword v22, v[20:21], off
	v_lshl_add_u64 v[20:21], v[18:19], 0, 1
	s_waitcnt vmcnt(0)
	v_cmp_lt_i32_e32 vcc, v22, v1
	s_nop 1
	v_cndmask_b32_e32 v15, v15, v21, vcc
	v_cndmask_b32_e32 v14, v14, v20, vcc
	;; [unrolled: 1-line block ×4, first 2 shown]
	v_cmp_ge_i64_e32 vcc, v[14:15], v[16:17]
	s_or_b64 s[16:17], vcc, s[16:17]
	s_andn2_b64 exec, exec, s[16:17]
	s_cbranch_execnz .LBB24_31
; %bb.32:
	s_or_b64 exec, exec, s[16:17]
.LBB24_33:
	s_or_b64 exec, exec, s[0:1]
	v_sub_co_u32_e32 v2, vcc, v2, v8
	v_mov_b32_e32 v20, s7
	s_nop 0
	v_subb_co_u32_e32 v3, vcc, v3, v9, vcc
	v_sub_co_u32_e32 v18, vcc, v12, v14
	s_nop 1
	v_subb_co_u32_e32 v19, vcc, v13, v15, vcc
	v_lshl_add_u64 v[16:17], v[18:19], 0, v[2:3]
	v_ashrrev_i64 v[2:3], 1, v[16:17]
	v_cmp_gt_i64_e32 vcc, v[2:3], v[18:19]
	s_nop 1
	v_cndmask_b32_e32 v3, v19, v3, vcc
	v_cndmask_b32_e32 v2, v18, v2, vcc
	v_lshl_add_u64 v[14:15], v[14:15], 0, v[2:3]
	v_lshl_add_u64 v[14:15], v[14:15], 0, 1
	v_cmp_gt_i64_e32 vcc, s[6:7], v[14:15]
	s_nop 1
	v_cndmask_b32_e32 v15, v20, v15, vcc
	v_mov_b32_e32 v20, s6
	v_cndmask_b32_e32 v14, v20, v14, vcc
	v_sub_co_u32_e32 v14, vcc, v14, v12
	s_nop 1
	v_subb_co_u32_e32 v15, vcc, v15, v13, vcc
	v_mov_b64_e32 v[12:13], 0
	v_cmp_lt_i64_e32 vcc, 0, v[14:15]
	s_and_saveexec_b64 s[0:1], vcc
	s_cbranch_execz .LBB24_37
; %bb.34:
	s_mov_b64 s[16:17], 0
	v_mov_b64_e32 v[12:13], 0
.LBB24_35:                              ; =>This Inner Loop Header: Depth=1
	v_lshl_add_u64 v[20:21], v[12:13], 0, v[14:15]
	v_lshrrev_b64 v[20:21], 1, v[20:21]
	v_lshl_add_u64 v[22:23], v[20:21], 2, v[10:11]
	global_load_dword v24, v[22:23], off
	v_lshl_add_u64 v[22:23], v[20:21], 0, 1
	s_waitcnt vmcnt(0)
	v_cmp_lt_i32_e32 vcc, v1, v24
	s_nop 1
	v_cndmask_b32_e32 v13, v23, v13, vcc
	v_cndmask_b32_e32 v12, v22, v12, vcc
	;; [unrolled: 1-line block ×4, first 2 shown]
	v_cmp_ge_i64_e32 vcc, v[12:13], v[14:15]
	s_or_b64 s[16:17], vcc, s[16:17]
	s_andn2_b64 exec, exec, s[16:17]
	s_cbranch_execnz .LBB24_35
; %bb.36:
	s_or_b64 exec, exec, s[16:17]
	v_ashrrev_i32_e32 v13, 31, v12
.LBB24_37:
	s_or_b64 exec, exec, s[0:1]
	v_lshl_add_u64 v[10:11], v[12:13], 0, v[18:19]
	v_cmp_lt_i64_e32 vcc, v[10:11], v[2:3]
	v_cmp_lt_i64_e64 s[0:1], v[2:3], v[10:11]
	s_nop 0
	v_cndmask_b32_e32 v12, v2, v10, vcc
	v_cndmask_b32_e32 v13, v3, v11, vcc
	v_sub_co_u32_e32 v14, vcc, v16, v12
	s_nop 1
	v_subb_co_u32_e32 v15, vcc, v17, v13, vcc
	v_lshl_add_u64 v[12:13], v[12:13], 0, 1
	v_cmp_eq_u64_e32 vcc, v[14:15], v[12:13]
	s_and_b64 s[0:1], vcc, s[0:1]
	v_cndmask_b32_e64 v10, 0, 1, s[0:1]
	s_mov_b32 s0, 0
	v_mov_b32_e32 v11, s0
	v_lshl_add_u64 v[2:3], v[14:15], 0, v[8:9]
.LBB24_38:
	s_or_b64 exec, exec, s[14:15]
	v_lshl_add_u64 v[8:9], v[4:5], 4, s[8:9]
	v_lshl_add_u64 v[4:5], v[10:11], 0, v[6:7]
	v_sub_co_u32_e32 v4, vcc, v4, v2
	s_nop 1
	v_subb_co_u32_e32 v5, vcc, v5, v3, vcc
	global_store_dwordx4 v[8:9], v[2:5], off
.LBB24_39:
	s_or_b64 exec, exec, s[2:3]
	s_cbranch_execnz .LBB24_2
.LBB24_40:
	v_add_u32_e32 v2, s18, v0
	s_movk_i32 s0, 0xfff
	s_waitcnt vmcnt(1)
	v_mad_u64_u32 v[0:1], s[0:1], v2, s0, 0
	s_add_u32 s0, s6, s4
	s_addc_u32 s1, s7, s5
	v_mov_b32_e32 v4, s1
	v_cmp_lt_i64_e32 vcc, s[0:1], v[0:1]
	v_mov_b32_e32 v6, s5
	v_mov_b32_e32 v3, 0
	v_cndmask_b32_e32 v5, v1, v4, vcc
	v_mov_b32_e32 v1, s0
	v_cndmask_b32_e32 v4, v0, v1, vcc
	v_mov_b32_e32 v1, s7
	v_subrev_co_u32_e32 v0, vcc, s6, v4
	s_mov_b64 s[0:1], 0
	s_nop 0
	v_subb_co_u32_e32 v1, vcc, v5, v1, vcc
	v_cmp_lt_i64_e32 vcc, 0, v[0:1]
	s_nop 1
	v_cndmask_b32_e32 v1, 0, v1, vcc
	v_cndmask_b32_e32 v0, 0, v0, vcc
	v_cmp_lt_i64_e32 vcc, s[4:5], v[4:5]
	s_nop 1
	v_cndmask_b32_e32 v7, v5, v6, vcc
	v_mov_b32_e32 v6, s4
	v_cndmask_b32_e32 v6, v4, v6, vcc
	v_cmp_lt_i64_e32 vcc, v[0:1], v[6:7]
	s_and_saveexec_b64 s[2:3], vcc
	s_cbranch_execz .LBB24_44
; %bb.41:
	v_lshl_add_u64 v[8:9], v[4:5], 2, s[12:13]
.LBB24_42:                              ; =>This Inner Loop Header: Depth=1
	v_lshl_add_u64 v[10:11], v[6:7], 0, v[0:1]
	v_lshrrev_b64 v[10:11], 1, v[10:11]
	v_lshlrev_b64 v[12:13], 2, v[10:11]
	v_lshl_add_u64 v[14:15], s[10:11], 0, v[12:13]
	v_xor_b32_e32 v13, -1, v13
	v_xor_b32_e32 v12, -4, v12
	v_lshl_add_u64 v[12:13], v[8:9], 0, v[12:13]
	global_load_dword v14, v[14:15], off
	s_nop 0
	global_load_dword v15, v[12:13], off
	v_lshl_add_u64 v[12:13], v[10:11], 0, 1
	s_waitcnt vmcnt(0)
	v_cmp_lt_i32_e32 vcc, v15, v14
	s_nop 1
	v_cndmask_b32_e32 v7, v7, v11, vcc
	v_cndmask_b32_e32 v6, v6, v10, vcc
	;; [unrolled: 1-line block ×4, first 2 shown]
	v_cmp_ge_i64_e32 vcc, v[0:1], v[6:7]
	s_or_b64 s[0:1], vcc, s[0:1]
	s_andn2_b64 exec, exec, s[0:1]
	s_cbranch_execnz .LBB24_42
; %bb.43:
	s_or_b64 exec, exec, s[0:1]
.LBB24_44:
	s_or_b64 exec, exec, s[2:3]
	v_sub_co_u32_e32 v10, vcc, v4, v0
	v_mov_b64_e32 v[8:9], 0
	s_nop 0
	v_subb_co_u32_e32 v11, vcc, v5, v1, vcc
	v_cmp_gt_i64_e32 vcc, s[6:7], v[10:11]
	s_and_saveexec_b64 s[2:3], vcc
	s_cbranch_execz .LBB24_74
; %bb.45:
	v_lshl_add_u64 v[8:9], v[10:11], 2, s[12:13]
	global_load_dword v18, v[8:9], off
	v_mov_b64_e32 v[6:7], 0
	v_cmp_lt_i64_e32 vcc, 0, v[0:1]
	v_mov_b64_e32 v[12:13], 0
	s_and_saveexec_b64 s[0:1], vcc
	s_cbranch_execnz .LBB24_50
; %bb.46:
	s_or_b64 exec, exec, s[0:1]
	v_cmp_lt_u64_e32 vcc, v[6:7], v[12:13]
	s_and_saveexec_b64 s[0:1], vcc
	s_cbranch_execnz .LBB24_51
.LBB24_47:
	s_or_b64 exec, exec, s[0:1]
	v_cmp_lt_u64_e32 vcc, v[6:7], v[12:13]
	s_and_saveexec_b64 s[0:1], vcc
	s_cbranch_execnz .LBB24_52
.LBB24_48:
	s_or_b64 exec, exec, s[0:1]
	v_cmp_lt_u64_e32 vcc, v[6:7], v[12:13]
	s_and_saveexec_b64 s[0:1], vcc
	s_cbranch_execnz .LBB24_53
.LBB24_49:
	s_or_b64 exec, exec, s[0:1]
	v_cmp_lt_u64_e32 vcc, v[6:7], v[12:13]
	s_and_saveexec_b64 s[0:1], vcc
	s_cbranch_execnz .LBB24_54
	s_branch .LBB24_57
.LBB24_50:
	s_movk_i32 s14, 0x1ff
	v_mad_u64_u32 v[6:7], s[4:5], v0, s14, 0
	v_mov_b32_e32 v12, v7
	v_mad_u64_u32 v[12:13], s[4:5], v1, s14, v[12:13]
	v_mov_b32_e32 v7, v12
	v_lshrrev_b64 v[12:13], 9, v[6:7]
	v_lshl_add_u64 v[6:7], v[12:13], 2, s[10:11]
	global_load_dword v14, v[6:7], off
	v_lshl_add_u64 v[6:7], v[12:13], 0, 1
	s_waitcnt vmcnt(0)
	v_cmp_lt_i32_e32 vcc, v14, v18
	s_nop 1
	v_cndmask_b32_e32 v7, 0, v7, vcc
	v_cndmask_b32_e32 v6, 0, v6, vcc
	v_cndmask_b32_e32 v13, v13, v1, vcc
	v_cndmask_b32_e32 v12, v12, v0, vcc
	s_or_b64 exec, exec, s[0:1]
	v_cmp_lt_u64_e32 vcc, v[6:7], v[12:13]
	s_and_saveexec_b64 s[0:1], vcc
	s_cbranch_execz .LBB24_47
.LBB24_51:
	s_movk_i32 s14, 0x7f
	v_mad_u64_u32 v[14:15], s[4:5], v12, s14, v[6:7]
	v_mov_b32_e32 v16, v15
	v_mad_u64_u32 v[16:17], s[4:5], v13, s14, v[16:17]
	v_mov_b32_e32 v15, v16
	v_lshrrev_b64 v[14:15], 7, v[14:15]
	v_lshl_add_u64 v[16:17], v[14:15], 2, s[10:11]
	global_load_dword v19, v[16:17], off
	v_lshl_add_u64 v[16:17], v[14:15], 0, 1
	s_waitcnt vmcnt(0)
	v_cmp_lt_i32_e32 vcc, v19, v18
	s_nop 1
	v_cndmask_b32_e32 v7, v7, v17, vcc
	v_cndmask_b32_e32 v6, v6, v16, vcc
	;; [unrolled: 1-line block ×4, first 2 shown]
	s_or_b64 exec, exec, s[0:1]
	v_cmp_lt_u64_e32 vcc, v[6:7], v[12:13]
	s_and_saveexec_b64 s[0:1], vcc
	s_cbranch_execz .LBB24_48
.LBB24_52:
	v_mad_u64_u32 v[14:15], s[4:5], v12, 31, v[6:7]
	v_mov_b32_e32 v16, v15
	v_mad_u64_u32 v[16:17], s[4:5], v13, 31, v[16:17]
	v_mov_b32_e32 v15, v16
	v_lshrrev_b64 v[14:15], 5, v[14:15]
	v_lshl_add_u64 v[16:17], v[14:15], 2, s[10:11]
	global_load_dword v19, v[16:17], off
	v_lshl_add_u64 v[16:17], v[14:15], 0, 1
	s_waitcnt vmcnt(0)
	v_cmp_lt_i32_e32 vcc, v19, v18
	s_nop 1
	v_cndmask_b32_e32 v7, v7, v17, vcc
	v_cndmask_b32_e32 v6, v6, v16, vcc
	;; [unrolled: 1-line block ×4, first 2 shown]
	s_or_b64 exec, exec, s[0:1]
	v_cmp_lt_u64_e32 vcc, v[6:7], v[12:13]
	s_and_saveexec_b64 s[0:1], vcc
	s_cbranch_execz .LBB24_49
.LBB24_53:
	v_mad_u64_u32 v[14:15], s[4:5], v12, 15, v[6:7]
	v_mov_b32_e32 v16, v15
	v_mad_u64_u32 v[16:17], s[4:5], v13, 15, v[16:17]
	v_mov_b32_e32 v15, v16
	v_lshrrev_b64 v[14:15], 4, v[14:15]
	v_lshl_add_u64 v[16:17], v[14:15], 2, s[10:11]
	global_load_dword v19, v[16:17], off
	v_lshl_add_u64 v[16:17], v[14:15], 0, 1
	s_waitcnt vmcnt(0)
	v_cmp_lt_i32_e32 vcc, v19, v18
	s_nop 1
	v_cndmask_b32_e32 v7, v7, v17, vcc
	v_cndmask_b32_e32 v6, v6, v16, vcc
	;; [unrolled: 1-line block ×4, first 2 shown]
	s_or_b64 exec, exec, s[0:1]
	v_cmp_lt_u64_e32 vcc, v[6:7], v[12:13]
	s_and_saveexec_b64 s[0:1], vcc
	s_cbranch_execz .LBB24_57
.LBB24_54:
	s_mov_b64 s[4:5], 0
.LBB24_55:                              ; =>This Inner Loop Header: Depth=1
	v_lshl_add_u64 v[14:15], v[6:7], 0, v[12:13]
	v_lshrrev_b64 v[14:15], 1, v[14:15]
	v_lshl_add_u64 v[16:17], v[14:15], 2, s[10:11]
	global_load_dword v19, v[16:17], off
	v_lshl_add_u64 v[16:17], v[14:15], 0, 1
	s_waitcnt vmcnt(0)
	v_cmp_lt_i32_e32 vcc, v19, v18
	s_nop 1
	v_cndmask_b32_e32 v7, v7, v17, vcc
	v_cndmask_b32_e32 v6, v6, v16, vcc
	v_cndmask_b32_e32 v13, v15, v13, vcc
	v_cndmask_b32_e32 v12, v14, v12, vcc
	v_cmp_ge_i64_e32 vcc, v[6:7], v[12:13]
	s_or_b64 s[4:5], vcc, s[4:5]
	s_andn2_b64 exec, exec, s[4:5]
	s_cbranch_execnz .LBB24_55
; %bb.56:
	s_or_b64 exec, exec, s[4:5]
.LBB24_57:
	s_or_b64 exec, exec, s[0:1]
	v_mov_b64_e32 v[12:13], 0
	v_cmp_lt_i64_e32 vcc, 0, v[10:11]
	v_mov_b64_e32 v[14:15], v[10:11]
	s_and_saveexec_b64 s[0:1], vcc
	s_cbranch_execnz .LBB24_62
; %bb.58:
	s_or_b64 exec, exec, s[0:1]
	v_cmp_lt_i64_e32 vcc, v[12:13], v[14:15]
	s_and_saveexec_b64 s[0:1], vcc
	s_cbranch_execnz .LBB24_63
.LBB24_59:
	s_or_b64 exec, exec, s[0:1]
	v_cmp_lt_i64_e32 vcc, v[12:13], v[14:15]
	s_and_saveexec_b64 s[0:1], vcc
	s_cbranch_execnz .LBB24_64
.LBB24_60:
	s_or_b64 exec, exec, s[0:1]
	v_cmp_lt_i64_e32 vcc, v[12:13], v[14:15]
	s_and_saveexec_b64 s[0:1], vcc
	s_cbranch_execnz .LBB24_65
.LBB24_61:
	s_or_b64 exec, exec, s[0:1]
	v_cmp_lt_i64_e32 vcc, v[12:13], v[14:15]
	s_and_saveexec_b64 s[0:1], vcc
	s_cbranch_execnz .LBB24_66
	s_branch .LBB24_69
.LBB24_62:
	s_movk_i32 s10, 0x1ff
	v_mad_u64_u32 v[12:13], s[4:5], v10, s10, 0
	v_mov_b32_e32 v14, v13
	v_mad_u64_u32 v[14:15], s[4:5], v11, s10, v[14:15]
	v_mov_b32_e32 v13, v14
	v_lshrrev_b64 v[14:15], 9, v[12:13]
	v_lshl_add_u64 v[12:13], v[14:15], 2, s[12:13]
	global_load_dword v16, v[12:13], off
	v_lshl_add_u64 v[12:13], v[14:15], 0, 1
	s_waitcnt vmcnt(0)
	v_cmp_lt_i32_e32 vcc, v16, v18
	s_nop 1
	v_cndmask_b32_e32 v13, 0, v13, vcc
	v_cndmask_b32_e32 v12, 0, v12, vcc
	;; [unrolled: 1-line block ×4, first 2 shown]
	s_or_b64 exec, exec, s[0:1]
	v_cmp_lt_i64_e32 vcc, v[12:13], v[14:15]
	s_and_saveexec_b64 s[0:1], vcc
	s_cbranch_execz .LBB24_59
.LBB24_63:
	s_movk_i32 s10, 0x7f
	v_mad_u64_u32 v[16:17], s[4:5], v14, s10, v[12:13]
	v_mov_b32_e32 v20, v17
	v_mad_u64_u32 v[20:21], s[4:5], v15, s10, v[20:21]
	v_mov_b32_e32 v17, v20
	v_lshrrev_b64 v[16:17], 7, v[16:17]
	v_lshl_add_u64 v[20:21], v[16:17], 2, s[12:13]
	global_load_dword v19, v[20:21], off
	v_lshl_add_u64 v[20:21], v[16:17], 0, 1
	s_waitcnt vmcnt(0)
	v_cmp_lt_i32_e32 vcc, v19, v18
	s_nop 1
	v_cndmask_b32_e32 v13, v13, v21, vcc
	v_cndmask_b32_e32 v12, v12, v20, vcc
	;; [unrolled: 1-line block ×4, first 2 shown]
	s_or_b64 exec, exec, s[0:1]
	v_cmp_lt_i64_e32 vcc, v[12:13], v[14:15]
	s_and_saveexec_b64 s[0:1], vcc
	s_cbranch_execz .LBB24_60
.LBB24_64:
	v_mad_u64_u32 v[16:17], s[4:5], v14, 31, v[12:13]
	v_mov_b32_e32 v20, v17
	v_mad_u64_u32 v[20:21], s[4:5], v15, 31, v[20:21]
	v_mov_b32_e32 v17, v20
	v_lshrrev_b64 v[16:17], 5, v[16:17]
	v_lshl_add_u64 v[20:21], v[16:17], 2, s[12:13]
	global_load_dword v19, v[20:21], off
	v_lshl_add_u64 v[20:21], v[16:17], 0, 1
	s_waitcnt vmcnt(0)
	v_cmp_lt_i32_e32 vcc, v19, v18
	s_nop 1
	v_cndmask_b32_e32 v13, v13, v21, vcc
	v_cndmask_b32_e32 v12, v12, v20, vcc
	;; [unrolled: 1-line block ×4, first 2 shown]
	s_or_b64 exec, exec, s[0:1]
	v_cmp_lt_i64_e32 vcc, v[12:13], v[14:15]
	s_and_saveexec_b64 s[0:1], vcc
	s_cbranch_execz .LBB24_61
.LBB24_65:
	v_mad_u64_u32 v[16:17], s[4:5], v14, 15, v[12:13]
	v_mov_b32_e32 v20, v17
	v_mad_u64_u32 v[20:21], s[4:5], v15, 15, v[20:21]
	v_mov_b32_e32 v17, v20
	v_lshrrev_b64 v[16:17], 4, v[16:17]
	v_lshl_add_u64 v[20:21], v[16:17], 2, s[12:13]
	global_load_dword v19, v[20:21], off
	v_lshl_add_u64 v[20:21], v[16:17], 0, 1
	s_waitcnt vmcnt(0)
	v_cmp_lt_i32_e32 vcc, v19, v18
	s_nop 1
	v_cndmask_b32_e32 v13, v13, v21, vcc
	v_cndmask_b32_e32 v12, v12, v20, vcc
	;; [unrolled: 1-line block ×4, first 2 shown]
	s_or_b64 exec, exec, s[0:1]
	v_cmp_lt_i64_e32 vcc, v[12:13], v[14:15]
	s_and_saveexec_b64 s[0:1], vcc
	s_cbranch_execz .LBB24_69
.LBB24_66:
	s_mov_b64 s[4:5], 0
.LBB24_67:                              ; =>This Inner Loop Header: Depth=1
	v_lshl_add_u64 v[16:17], v[12:13], 0, v[14:15]
	v_lshrrev_b64 v[16:17], 1, v[16:17]
	v_lshl_add_u64 v[20:21], v[16:17], 2, s[12:13]
	global_load_dword v19, v[20:21], off
	v_lshl_add_u64 v[20:21], v[16:17], 0, 1
	s_waitcnt vmcnt(0)
	v_cmp_lt_i32_e32 vcc, v19, v18
	s_nop 1
	v_cndmask_b32_e32 v13, v13, v21, vcc
	v_cndmask_b32_e32 v12, v12, v20, vcc
	;; [unrolled: 1-line block ×4, first 2 shown]
	v_cmp_ge_i64_e32 vcc, v[12:13], v[14:15]
	s_or_b64 s[4:5], vcc, s[4:5]
	s_andn2_b64 exec, exec, s[4:5]
	s_cbranch_execnz .LBB24_67
; %bb.68:
	s_or_b64 exec, exec, s[4:5]
.LBB24_69:
	s_or_b64 exec, exec, s[0:1]
	v_sub_co_u32_e32 v0, vcc, v0, v6
	v_mov_b32_e32 v19, s7
	s_nop 0
	v_subb_co_u32_e32 v1, vcc, v1, v7, vcc
	v_sub_co_u32_e32 v16, vcc, v10, v12
	s_nop 1
	v_subb_co_u32_e32 v17, vcc, v11, v13, vcc
	v_lshl_add_u64 v[14:15], v[16:17], 0, v[0:1]
	v_ashrrev_i64 v[0:1], 1, v[14:15]
	v_cmp_gt_i64_e32 vcc, v[0:1], v[16:17]
	s_nop 1
	v_cndmask_b32_e32 v1, v17, v1, vcc
	v_cndmask_b32_e32 v0, v16, v0, vcc
	v_lshl_add_u64 v[12:13], v[12:13], 0, v[0:1]
	v_lshl_add_u64 v[12:13], v[12:13], 0, 1
	v_cmp_gt_i64_e32 vcc, s[6:7], v[12:13]
	s_nop 1
	v_cndmask_b32_e32 v13, v19, v13, vcc
	v_mov_b32_e32 v19, s6
	v_cndmask_b32_e32 v12, v19, v12, vcc
	v_sub_co_u32_e32 v12, vcc, v12, v10
	s_nop 1
	v_subb_co_u32_e32 v13, vcc, v13, v11, vcc
	v_mov_b64_e32 v[10:11], 0
	v_cmp_lt_i64_e32 vcc, 0, v[12:13]
	s_and_saveexec_b64 s[0:1], vcc
	s_cbranch_execz .LBB24_73
; %bb.70:
	s_mov_b64 s[4:5], 0
	v_mov_b64_e32 v[10:11], 0
.LBB24_71:                              ; =>This Inner Loop Header: Depth=1
	v_lshl_add_u64 v[20:21], v[10:11], 0, v[12:13]
	v_lshrrev_b64 v[20:21], 1, v[20:21]
	v_lshl_add_u64 v[22:23], v[20:21], 2, v[8:9]
	global_load_dword v19, v[22:23], off
	v_lshl_add_u64 v[22:23], v[20:21], 0, 1
	s_waitcnt vmcnt(0)
	v_cmp_lt_i32_e32 vcc, v18, v19
	s_nop 1
	v_cndmask_b32_e32 v11, v23, v11, vcc
	v_cndmask_b32_e32 v10, v22, v10, vcc
	;; [unrolled: 1-line block ×4, first 2 shown]
	v_cmp_ge_i64_e32 vcc, v[10:11], v[12:13]
	s_or_b64 s[4:5], vcc, s[4:5]
	s_andn2_b64 exec, exec, s[4:5]
	s_cbranch_execnz .LBB24_71
; %bb.72:
	s_or_b64 exec, exec, s[4:5]
	v_ashrrev_i32_e32 v11, 31, v10
.LBB24_73:
	s_or_b64 exec, exec, s[0:1]
	v_lshl_add_u64 v[8:9], v[10:11], 0, v[16:17]
	v_cmp_lt_i64_e32 vcc, v[8:9], v[0:1]
	v_cmp_lt_i64_e64 s[0:1], v[0:1], v[8:9]
	s_nop 0
	v_cndmask_b32_e32 v10, v0, v8, vcc
	v_cndmask_b32_e32 v11, v1, v9, vcc
	v_sub_co_u32_e32 v12, vcc, v14, v10
	s_nop 1
	v_subb_co_u32_e32 v13, vcc, v15, v11, vcc
	v_lshl_add_u64 v[10:11], v[10:11], 0, 1
	v_cmp_eq_u64_e32 vcc, v[12:13], v[10:11]
	s_and_b64 s[0:1], vcc, s[0:1]
	v_cndmask_b32_e64 v8, 0, 1, s[0:1]
	s_mov_b32 s0, 0
	v_mov_b32_e32 v9, s0
	v_lshl_add_u64 v[0:1], v[12:13], 0, v[6:7]
.LBB24_74:
	s_or_b64 exec, exec, s[2:3]
	v_lshl_add_u64 v[6:7], v[2:3], 4, s[8:9]
	v_lshl_add_u64 v[2:3], v[8:9], 0, v[4:5]
	v_sub_co_u32_e32 v2, vcc, v2, v0
	s_nop 1
	v_subb_co_u32_e32 v3, vcc, v3, v1, vcc
	global_store_dwordx4 v[6:7], v[0:3], off
	s_endpgm
	.section	.rodata,"a",@progbits
	.p2align	6, 0x0
	.amdhsa_kernel _ZN6thrust23THRUST_200600_302600_NS11hip_rocprim14__parallel_for6kernelILj256EZNS1_16__set_operations9doit_stepILb0ENS0_6detail15normal_iteratorINS0_10device_ptrIKiEEEESB_PiSC_lNS7_INS8_IiEEEESC_NS0_4lessIiEENS4_21serial_set_differenceEEE10hipError_tPvRmT0_T1_T2_T3_T4_SP_T5_T6_PSP_T7_T8_P12ihipStream_tbEUllE_jLj1EEEvSL_SM_SM_
		.amdhsa_group_segment_fixed_size 0
		.amdhsa_private_segment_fixed_size 0
		.amdhsa_kernarg_size 56
		.amdhsa_user_sgpr_count 2
		.amdhsa_user_sgpr_dispatch_ptr 0
		.amdhsa_user_sgpr_queue_ptr 0
		.amdhsa_user_sgpr_kernarg_segment_ptr 1
		.amdhsa_user_sgpr_dispatch_id 0
		.amdhsa_user_sgpr_kernarg_preload_length 0
		.amdhsa_user_sgpr_kernarg_preload_offset 0
		.amdhsa_user_sgpr_private_segment_size 0
		.amdhsa_uses_dynamic_stack 0
		.amdhsa_enable_private_segment 0
		.amdhsa_system_sgpr_workgroup_id_x 1
		.amdhsa_system_sgpr_workgroup_id_y 0
		.amdhsa_system_sgpr_workgroup_id_z 0
		.amdhsa_system_sgpr_workgroup_info 0
		.amdhsa_system_vgpr_workitem_id 0
		.amdhsa_next_free_vgpr 25
		.amdhsa_next_free_sgpr 20
		.amdhsa_accum_offset 28
		.amdhsa_reserve_vcc 1
		.amdhsa_float_round_mode_32 0
		.amdhsa_float_round_mode_16_64 0
		.amdhsa_float_denorm_mode_32 3
		.amdhsa_float_denorm_mode_16_64 3
		.amdhsa_dx10_clamp 1
		.amdhsa_ieee_mode 1
		.amdhsa_fp16_overflow 0
		.amdhsa_tg_split 0
		.amdhsa_exception_fp_ieee_invalid_op 0
		.amdhsa_exception_fp_denorm_src 0
		.amdhsa_exception_fp_ieee_div_zero 0
		.amdhsa_exception_fp_ieee_overflow 0
		.amdhsa_exception_fp_ieee_underflow 0
		.amdhsa_exception_fp_ieee_inexact 0
		.amdhsa_exception_int_div_zero 0
	.end_amdhsa_kernel
	.section	.text._ZN6thrust23THRUST_200600_302600_NS11hip_rocprim14__parallel_for6kernelILj256EZNS1_16__set_operations9doit_stepILb0ENS0_6detail15normal_iteratorINS0_10device_ptrIKiEEEESB_PiSC_lNS7_INS8_IiEEEESC_NS0_4lessIiEENS4_21serial_set_differenceEEE10hipError_tPvRmT0_T1_T2_T3_T4_SP_T5_T6_PSP_T7_T8_P12ihipStream_tbEUllE_jLj1EEEvSL_SM_SM_,"axG",@progbits,_ZN6thrust23THRUST_200600_302600_NS11hip_rocprim14__parallel_for6kernelILj256EZNS1_16__set_operations9doit_stepILb0ENS0_6detail15normal_iteratorINS0_10device_ptrIKiEEEESB_PiSC_lNS7_INS8_IiEEEESC_NS0_4lessIiEENS4_21serial_set_differenceEEE10hipError_tPvRmT0_T1_T2_T3_T4_SP_T5_T6_PSP_T7_T8_P12ihipStream_tbEUllE_jLj1EEEvSL_SM_SM_,comdat
.Lfunc_end24:
	.size	_ZN6thrust23THRUST_200600_302600_NS11hip_rocprim14__parallel_for6kernelILj256EZNS1_16__set_operations9doit_stepILb0ENS0_6detail15normal_iteratorINS0_10device_ptrIKiEEEESB_PiSC_lNS7_INS8_IiEEEESC_NS0_4lessIiEENS4_21serial_set_differenceEEE10hipError_tPvRmT0_T1_T2_T3_T4_SP_T5_T6_PSP_T7_T8_P12ihipStream_tbEUllE_jLj1EEEvSL_SM_SM_, .Lfunc_end24-_ZN6thrust23THRUST_200600_302600_NS11hip_rocprim14__parallel_for6kernelILj256EZNS1_16__set_operations9doit_stepILb0ENS0_6detail15normal_iteratorINS0_10device_ptrIKiEEEESB_PiSC_lNS7_INS8_IiEEEESC_NS0_4lessIiEENS4_21serial_set_differenceEEE10hipError_tPvRmT0_T1_T2_T3_T4_SP_T5_T6_PSP_T7_T8_P12ihipStream_tbEUllE_jLj1EEEvSL_SM_SM_
                                        ; -- End function
	.set _ZN6thrust23THRUST_200600_302600_NS11hip_rocprim14__parallel_for6kernelILj256EZNS1_16__set_operations9doit_stepILb0ENS0_6detail15normal_iteratorINS0_10device_ptrIKiEEEESB_PiSC_lNS7_INS8_IiEEEESC_NS0_4lessIiEENS4_21serial_set_differenceEEE10hipError_tPvRmT0_T1_T2_T3_T4_SP_T5_T6_PSP_T7_T8_P12ihipStream_tbEUllE_jLj1EEEvSL_SM_SM_.num_vgpr, 25
	.set _ZN6thrust23THRUST_200600_302600_NS11hip_rocprim14__parallel_for6kernelILj256EZNS1_16__set_operations9doit_stepILb0ENS0_6detail15normal_iteratorINS0_10device_ptrIKiEEEESB_PiSC_lNS7_INS8_IiEEEESC_NS0_4lessIiEENS4_21serial_set_differenceEEE10hipError_tPvRmT0_T1_T2_T3_T4_SP_T5_T6_PSP_T7_T8_P12ihipStream_tbEUllE_jLj1EEEvSL_SM_SM_.num_agpr, 0
	.set _ZN6thrust23THRUST_200600_302600_NS11hip_rocprim14__parallel_for6kernelILj256EZNS1_16__set_operations9doit_stepILb0ENS0_6detail15normal_iteratorINS0_10device_ptrIKiEEEESB_PiSC_lNS7_INS8_IiEEEESC_NS0_4lessIiEENS4_21serial_set_differenceEEE10hipError_tPvRmT0_T1_T2_T3_T4_SP_T5_T6_PSP_T7_T8_P12ihipStream_tbEUllE_jLj1EEEvSL_SM_SM_.numbered_sgpr, 20
	.set _ZN6thrust23THRUST_200600_302600_NS11hip_rocprim14__parallel_for6kernelILj256EZNS1_16__set_operations9doit_stepILb0ENS0_6detail15normal_iteratorINS0_10device_ptrIKiEEEESB_PiSC_lNS7_INS8_IiEEEESC_NS0_4lessIiEENS4_21serial_set_differenceEEE10hipError_tPvRmT0_T1_T2_T3_T4_SP_T5_T6_PSP_T7_T8_P12ihipStream_tbEUllE_jLj1EEEvSL_SM_SM_.num_named_barrier, 0
	.set _ZN6thrust23THRUST_200600_302600_NS11hip_rocprim14__parallel_for6kernelILj256EZNS1_16__set_operations9doit_stepILb0ENS0_6detail15normal_iteratorINS0_10device_ptrIKiEEEESB_PiSC_lNS7_INS8_IiEEEESC_NS0_4lessIiEENS4_21serial_set_differenceEEE10hipError_tPvRmT0_T1_T2_T3_T4_SP_T5_T6_PSP_T7_T8_P12ihipStream_tbEUllE_jLj1EEEvSL_SM_SM_.private_seg_size, 0
	.set _ZN6thrust23THRUST_200600_302600_NS11hip_rocprim14__parallel_for6kernelILj256EZNS1_16__set_operations9doit_stepILb0ENS0_6detail15normal_iteratorINS0_10device_ptrIKiEEEESB_PiSC_lNS7_INS8_IiEEEESC_NS0_4lessIiEENS4_21serial_set_differenceEEE10hipError_tPvRmT0_T1_T2_T3_T4_SP_T5_T6_PSP_T7_T8_P12ihipStream_tbEUllE_jLj1EEEvSL_SM_SM_.uses_vcc, 1
	.set _ZN6thrust23THRUST_200600_302600_NS11hip_rocprim14__parallel_for6kernelILj256EZNS1_16__set_operations9doit_stepILb0ENS0_6detail15normal_iteratorINS0_10device_ptrIKiEEEESB_PiSC_lNS7_INS8_IiEEEESC_NS0_4lessIiEENS4_21serial_set_differenceEEE10hipError_tPvRmT0_T1_T2_T3_T4_SP_T5_T6_PSP_T7_T8_P12ihipStream_tbEUllE_jLj1EEEvSL_SM_SM_.uses_flat_scratch, 0
	.set _ZN6thrust23THRUST_200600_302600_NS11hip_rocprim14__parallel_for6kernelILj256EZNS1_16__set_operations9doit_stepILb0ENS0_6detail15normal_iteratorINS0_10device_ptrIKiEEEESB_PiSC_lNS7_INS8_IiEEEESC_NS0_4lessIiEENS4_21serial_set_differenceEEE10hipError_tPvRmT0_T1_T2_T3_T4_SP_T5_T6_PSP_T7_T8_P12ihipStream_tbEUllE_jLj1EEEvSL_SM_SM_.has_dyn_sized_stack, 0
	.set _ZN6thrust23THRUST_200600_302600_NS11hip_rocprim14__parallel_for6kernelILj256EZNS1_16__set_operations9doit_stepILb0ENS0_6detail15normal_iteratorINS0_10device_ptrIKiEEEESB_PiSC_lNS7_INS8_IiEEEESC_NS0_4lessIiEENS4_21serial_set_differenceEEE10hipError_tPvRmT0_T1_T2_T3_T4_SP_T5_T6_PSP_T7_T8_P12ihipStream_tbEUllE_jLj1EEEvSL_SM_SM_.has_recursion, 0
	.set _ZN6thrust23THRUST_200600_302600_NS11hip_rocprim14__parallel_for6kernelILj256EZNS1_16__set_operations9doit_stepILb0ENS0_6detail15normal_iteratorINS0_10device_ptrIKiEEEESB_PiSC_lNS7_INS8_IiEEEESC_NS0_4lessIiEENS4_21serial_set_differenceEEE10hipError_tPvRmT0_T1_T2_T3_T4_SP_T5_T6_PSP_T7_T8_P12ihipStream_tbEUllE_jLj1EEEvSL_SM_SM_.has_indirect_call, 0
	.section	.AMDGPU.csdata,"",@progbits
; Kernel info:
; codeLenInByte = 3768
; TotalNumSgprs: 26
; NumVgprs: 25
; NumAgprs: 0
; TotalNumVgprs: 25
; ScratchSize: 0
; MemoryBound: 0
; FloatMode: 240
; IeeeMode: 1
; LDSByteSize: 0 bytes/workgroup (compile time only)
; SGPRBlocks: 3
; VGPRBlocks: 3
; NumSGPRsForWavesPerEU: 26
; NumVGPRsForWavesPerEU: 25
; AccumOffset: 28
; Occupancy: 8
; WaveLimiterHint : 0
; COMPUTE_PGM_RSRC2:SCRATCH_EN: 0
; COMPUTE_PGM_RSRC2:USER_SGPR: 2
; COMPUTE_PGM_RSRC2:TRAP_HANDLER: 0
; COMPUTE_PGM_RSRC2:TGID_X_EN: 1
; COMPUTE_PGM_RSRC2:TGID_Y_EN: 0
; COMPUTE_PGM_RSRC2:TGID_Z_EN: 0
; COMPUTE_PGM_RSRC2:TIDIG_COMP_CNT: 0
; COMPUTE_PGM_RSRC3_GFX90A:ACCUM_OFFSET: 6
; COMPUTE_PGM_RSRC3_GFX90A:TG_SPLIT: 0
	.section	.text._ZN6thrust23THRUST_200600_302600_NS11hip_rocprim16__set_operations22lookback_set_op_kernelIN7rocprim17ROCPRIM_400000_NS13kernel_configILj256ELj16ELj4294967295EEELb0ENS0_6detail15normal_iteratorINS0_10device_ptrIKiEEEESD_PiSE_lNS9_INSA_IiEEEESE_NS0_4lessIiEENS2_21serial_set_differenceENS5_6detail19lookback_scan_stateIlLb0ELb1EEEEEvT1_T2_T3_T4_T6_T7_T8_T9_PNS0_4pairIT5_SW_EEPSW_T10_NSK_16ordered_block_idIjEE,"axG",@progbits,_ZN6thrust23THRUST_200600_302600_NS11hip_rocprim16__set_operations22lookback_set_op_kernelIN7rocprim17ROCPRIM_400000_NS13kernel_configILj256ELj16ELj4294967295EEELb0ENS0_6detail15normal_iteratorINS0_10device_ptrIKiEEEESD_PiSE_lNS9_INSA_IiEEEESE_NS0_4lessIiEENS2_21serial_set_differenceENS5_6detail19lookback_scan_stateIlLb0ELb1EEEEEvT1_T2_T3_T4_T6_T7_T8_T9_PNS0_4pairIT5_SW_EEPSW_T10_NSK_16ordered_block_idIjEE,comdat
	.protected	_ZN6thrust23THRUST_200600_302600_NS11hip_rocprim16__set_operations22lookback_set_op_kernelIN7rocprim17ROCPRIM_400000_NS13kernel_configILj256ELj16ELj4294967295EEELb0ENS0_6detail15normal_iteratorINS0_10device_ptrIKiEEEESD_PiSE_lNS9_INSA_IiEEEESE_NS0_4lessIiEENS2_21serial_set_differenceENS5_6detail19lookback_scan_stateIlLb0ELb1EEEEEvT1_T2_T3_T4_T6_T7_T8_T9_PNS0_4pairIT5_SW_EEPSW_T10_NSK_16ordered_block_idIjEE ; -- Begin function _ZN6thrust23THRUST_200600_302600_NS11hip_rocprim16__set_operations22lookback_set_op_kernelIN7rocprim17ROCPRIM_400000_NS13kernel_configILj256ELj16ELj4294967295EEELb0ENS0_6detail15normal_iteratorINS0_10device_ptrIKiEEEESD_PiSE_lNS9_INSA_IiEEEESE_NS0_4lessIiEENS2_21serial_set_differenceENS5_6detail19lookback_scan_stateIlLb0ELb1EEEEEvT1_T2_T3_T4_T6_T7_T8_T9_PNS0_4pairIT5_SW_EEPSW_T10_NSK_16ordered_block_idIjEE
	.globl	_ZN6thrust23THRUST_200600_302600_NS11hip_rocprim16__set_operations22lookback_set_op_kernelIN7rocprim17ROCPRIM_400000_NS13kernel_configILj256ELj16ELj4294967295EEELb0ENS0_6detail15normal_iteratorINS0_10device_ptrIKiEEEESD_PiSE_lNS9_INSA_IiEEEESE_NS0_4lessIiEENS2_21serial_set_differenceENS5_6detail19lookback_scan_stateIlLb0ELb1EEEEEvT1_T2_T3_T4_T6_T7_T8_T9_PNS0_4pairIT5_SW_EEPSW_T10_NSK_16ordered_block_idIjEE
	.p2align	8
	.type	_ZN6thrust23THRUST_200600_302600_NS11hip_rocprim16__set_operations22lookback_set_op_kernelIN7rocprim17ROCPRIM_400000_NS13kernel_configILj256ELj16ELj4294967295EEELb0ENS0_6detail15normal_iteratorINS0_10device_ptrIKiEEEESD_PiSE_lNS9_INSA_IiEEEESE_NS0_4lessIiEENS2_21serial_set_differenceENS5_6detail19lookback_scan_stateIlLb0ELb1EEEEEvT1_T2_T3_T4_T6_T7_T8_T9_PNS0_4pairIT5_SW_EEPSW_T10_NSK_16ordered_block_idIjEE,@function
_ZN6thrust23THRUST_200600_302600_NS11hip_rocprim16__set_operations22lookback_set_op_kernelIN7rocprim17ROCPRIM_400000_NS13kernel_configILj256ELj16ELj4294967295EEELb0ENS0_6detail15normal_iteratorINS0_10device_ptrIKiEEEESD_PiSE_lNS9_INSA_IiEEEESE_NS0_4lessIiEENS2_21serial_set_differenceENS5_6detail19lookback_scan_stateIlLb0ELb1EEEEEvT1_T2_T3_T4_T6_T7_T8_T9_PNS0_4pairIT5_SW_EEPSW_T10_NSK_16ordered_block_idIjEE: ; @_ZN6thrust23THRUST_200600_302600_NS11hip_rocprim16__set_operations22lookback_set_op_kernelIN7rocprim17ROCPRIM_400000_NS13kernel_configILj256ELj16ELj4294967295EEELb0ENS0_6detail15normal_iteratorINS0_10device_ptrIKiEEEESD_PiSE_lNS9_INSA_IiEEEESE_NS0_4lessIiEENS2_21serial_set_differenceENS5_6detail19lookback_scan_stateIlLb0ELb1EEEEEvT1_T2_T3_T4_T6_T7_T8_T9_PNS0_4pairIT5_SW_EEPSW_T10_NSK_16ordered_block_idIjEE
; %bb.0:
	s_load_dword s2, s[0:1], 0x64
	s_load_dword s16, s[0:1], 0x58
	s_load_dwordx8 s[8:15], s[0:1], 0x38
	v_bfe_u32 v1, v0, 10, 10
	v_bfe_u32 v2, v0, 20, 10
	s_waitcnt lgkmcnt(0)
	s_lshr_b32 s3, s2, 16
	s_and_b32 s2, s2, 0xffff
	v_mad_u32_u24 v1, v2, s3, v1
	v_and_b32_e32 v16, 0x3ff, v0
	v_mul_lo_u32 v1, v1, s2
	v_sub_u32_e32 v0, 0, v16
	v_cmp_eq_u32_e32 vcc, v1, v0
	s_and_saveexec_b64 s[2:3], vcc
	s_cbranch_execz .LBB25_4
; %bb.1:
	s_mov_b64 s[6:7], exec
	v_mbcnt_lo_u32_b32 v0, s6, 0
	v_mbcnt_hi_u32_b32 v0, s7, v0
	v_cmp_eq_u32_e32 vcc, 0, v0
                                        ; implicit-def: $vgpr1
	s_and_saveexec_b64 s[4:5], vcc
	s_cbranch_execz .LBB25_3
; %bb.2:
	s_bcnt1_i32_b64 s6, s[6:7]
	v_mov_b32_e32 v1, 0
	v_mov_b32_e32 v2, s6
	global_atomic_add v1, v1, v2, s[14:15] sc0
.LBB25_3:
	s_or_b64 exec, exec, s[4:5]
	s_waitcnt vmcnt(0)
	v_readfirstlane_b32 s4, v1
	v_mov_b32_e32 v1, 0
	s_nop 0
	v_add_u32_e32 v0, s4, v0
	ds_write_b32 v1, v0 offset:36864
.LBB25_4:
	s_or_b64 exec, exec, s[2:3]
	v_mov_b32_e32 v0, 0
	s_waitcnt lgkmcnt(0)
	s_barrier
	ds_read_b32 v1, v0 offset:36864
	s_add_i32 s16, s16, -1
	s_waitcnt lgkmcnt(0)
	v_readfirstlane_b32 s14, v1
	s_ashr_i32 s15, s14, 31
	s_lshl_b64 s[2:3], s[14:15], 4
	s_add_u32 s2, s8, s2
	s_addc_u32 s3, s9, s3
	global_load_dwordx4 v[2:5], v0, s[2:3] offset:16
	global_load_dwordx4 v[6:9], v0, s[2:3]
	s_load_dwordx4 s[4:7], s[0:1], 0x0
	s_load_dwordx2 s[8:9], s[0:1], 0x20
	v_cmp_le_i32_e32 vcc, s16, v1
	s_and_b64 vcc, exec, vcc
	s_mov_b64 s[0:1], -1
	s_waitcnt vmcnt(0)
	v_sub_u32_e32 v26, v2, v6
	v_sub_u32_e32 v27, v4, v8
	v_lshlrev_b64 v[2:3], 2, v[6:7]
	v_lshlrev_b64 v[4:5], 2, v[8:9]
	s_waitcnt lgkmcnt(0)
	v_lshl_add_u64 v[20:21], s[4:5], 0, v[2:3]
	v_lshl_add_u64 v[18:19], s[6:7], 0, v[4:5]
	s_cbranch_vccz .LBB25_212
; %bb.5:
	v_add_u32_e32 v17, v27, v26
	v_cmp_lt_i32_e32 vcc, v16, v17
	v_mov_b32_e32 v1, v0
	v_mov_b32_e32 v2, v0
	;; [unrolled: 1-line block ×15, first 2 shown]
	s_and_saveexec_b64 s[0:1], vcc
	s_cbranch_execz .LBB25_7
; %bb.6:
	v_lshlrev_b32_e32 v0, 2, v16
	v_mov_b32_e32 v1, 0
	v_lshl_add_u64 v[2:3], v[20:21], 0, v[0:1]
	v_sub_u32_e32 v0, v16, v26
	v_lshl_add_u64 v[4:5], v[0:1], 2, v[18:19]
	v_cmp_lt_i32_e32 vcc, v16, v26
	v_mov_b32_e32 v6, v1
	v_mov_b32_e32 v7, v1
	v_cndmask_b32_e32 v3, v5, v3, vcc
	v_cndmask_b32_e32 v2, v4, v2, vcc
	global_load_dword v0, v[2:3], off
	v_mov_b32_e32 v2, v1
	v_mov_b32_e32 v3, v1
	;; [unrolled: 1-line block ×12, first 2 shown]
.LBB25_7:
	s_or_b64 exec, exec, s[0:1]
	v_add_u32_e32 v22, 0x100, v16
	v_cmp_lt_i32_e32 vcc, v22, v17
	s_and_saveexec_b64 s[0:1], vcc
	s_cbranch_execz .LBB25_9
; %bb.8:
	v_lshlrev_b32_e32 v24, 2, v16
	v_mov_b32_e32 v25, 0
	v_lshl_add_u64 v[28:29], v[20:21], 0, v[24:25]
	s_mov_b64 s[2:3], 0x400
	v_sub_u32_e32 v24, v22, v26
	v_lshl_add_u64 v[28:29], v[28:29], 0, s[2:3]
	v_lshl_add_u64 v[24:25], v[24:25], 2, v[18:19]
	v_cmp_lt_i32_e32 vcc, v22, v26
	s_nop 1
	v_cndmask_b32_e32 v23, v25, v29, vcc
	v_cndmask_b32_e32 v22, v24, v28, vcc
	global_load_dword v1, v[22:23], off
.LBB25_9:
	s_or_b64 exec, exec, s[0:1]
	v_add_u32_e32 v22, 0x200, v16
	v_cmp_lt_i32_e32 vcc, v22, v17
	s_and_saveexec_b64 s[0:1], vcc
	s_cbranch_execz .LBB25_11
; %bb.10:
	v_lshlrev_b32_e32 v24, 2, v16
	v_mov_b32_e32 v25, 0
	v_lshl_add_u64 v[28:29], v[20:21], 0, v[24:25]
	s_mov_b64 s[2:3], 0x800
	v_sub_u32_e32 v24, v22, v26
	v_lshl_add_u64 v[28:29], v[28:29], 0, s[2:3]
	v_lshl_add_u64 v[24:25], v[24:25], 2, v[18:19]
	v_cmp_lt_i32_e32 vcc, v22, v26
	s_nop 1
	v_cndmask_b32_e32 v23, v25, v29, vcc
	v_cndmask_b32_e32 v22, v24, v28, vcc
	global_load_dword v2, v[22:23], off
.LBB25_11:
	s_or_b64 exec, exec, s[0:1]
	v_add_u32_e32 v22, 0x300, v16
	v_cmp_lt_i32_e32 vcc, v22, v17
	s_and_saveexec_b64 s[0:1], vcc
	s_cbranch_execz .LBB25_13
; %bb.12:
	v_lshlrev_b32_e32 v24, 2, v16
	v_mov_b32_e32 v25, 0
	v_lshl_add_u64 v[28:29], v[20:21], 0, v[24:25]
	s_mov_b64 s[2:3], 0xc00
	v_sub_u32_e32 v24, v22, v26
	v_lshl_add_u64 v[28:29], v[28:29], 0, s[2:3]
	v_lshl_add_u64 v[24:25], v[24:25], 2, v[18:19]
	v_cmp_lt_i32_e32 vcc, v22, v26
	s_nop 1
	v_cndmask_b32_e32 v23, v25, v29, vcc
	v_cndmask_b32_e32 v22, v24, v28, vcc
	global_load_dword v3, v[22:23], off
.LBB25_13:
	s_or_b64 exec, exec, s[0:1]
	v_or_b32_e32 v22, 0x400, v16
	v_cmp_lt_i32_e32 vcc, v22, v17
	s_and_saveexec_b64 s[0:1], vcc
	s_cbranch_execz .LBB25_15
; %bb.14:
	v_lshlrev_b32_e32 v24, 2, v22
	v_mov_b32_e32 v25, 0
	v_lshl_add_u64 v[28:29], v[20:21], 0, v[24:25]
	v_sub_u32_e32 v24, v22, v26
	v_lshl_add_u64 v[24:25], v[24:25], 2, v[18:19]
	v_cmp_lt_i32_e32 vcc, v22, v26
	s_nop 1
	v_cndmask_b32_e32 v23, v25, v29, vcc
	v_cndmask_b32_e32 v22, v24, v28, vcc
	global_load_dword v4, v[22:23], off
.LBB25_15:
	s_or_b64 exec, exec, s[0:1]
	v_add_u32_e32 v22, 0x500, v16
	v_cmp_lt_i32_e32 vcc, v22, v17
	s_and_saveexec_b64 s[0:1], vcc
	s_cbranch_execz .LBB25_17
; %bb.16:
	v_lshlrev_b32_e32 v24, 2, v22
	v_mov_b32_e32 v25, 0
	v_lshl_add_u64 v[28:29], v[20:21], 0, v[24:25]
	v_sub_u32_e32 v24, v22, v26
	v_lshl_add_u64 v[24:25], v[24:25], 2, v[18:19]
	v_cmp_lt_i32_e32 vcc, v22, v26
	s_nop 1
	v_cndmask_b32_e32 v23, v25, v29, vcc
	v_cndmask_b32_e32 v22, v24, v28, vcc
	global_load_dword v5, v[22:23], off
.LBB25_17:
	s_or_b64 exec, exec, s[0:1]
	v_add_u32_e32 v22, 0x600, v16
	;; [unrolled: 17-line block ×3, first 2 shown]
	v_cmp_lt_i32_e32 vcc, v22, v17
	s_and_saveexec_b64 s[0:1], vcc
	s_cbranch_execz .LBB25_21
; %bb.20:
	v_lshlrev_b32_e32 v24, 2, v22
	v_mov_b32_e32 v25, 0
	v_lshl_add_u64 v[28:29], v[20:21], 0, v[24:25]
	v_sub_u32_e32 v24, v22, v26
	v_lshl_add_u64 v[24:25], v[24:25], 2, v[18:19]
	v_cmp_lt_i32_e32 vcc, v22, v26
	s_nop 1
	v_cndmask_b32_e32 v23, v25, v29, vcc
	v_cndmask_b32_e32 v22, v24, v28, vcc
	global_load_dword v7, v[22:23], off
.LBB25_21:
	s_or_b64 exec, exec, s[0:1]
	v_or_b32_e32 v22, 0x800, v16
	v_cmp_lt_i32_e32 vcc, v22, v17
	s_and_saveexec_b64 s[0:1], vcc
	s_cbranch_execz .LBB25_23
; %bb.22:
	v_lshlrev_b32_e32 v24, 2, v22
	v_mov_b32_e32 v25, 0
	v_lshl_add_u64 v[28:29], v[20:21], 0, v[24:25]
	v_sub_u32_e32 v24, v22, v26
	v_lshl_add_u64 v[24:25], v[24:25], 2, v[18:19]
	v_cmp_lt_i32_e32 vcc, v22, v26
	s_nop 1
	v_cndmask_b32_e32 v23, v25, v29, vcc
	v_cndmask_b32_e32 v22, v24, v28, vcc
	global_load_dword v8, v[22:23], off
.LBB25_23:
	s_or_b64 exec, exec, s[0:1]
	v_add_u32_e32 v22, 0x900, v16
	v_cmp_lt_i32_e32 vcc, v22, v17
	s_and_saveexec_b64 s[0:1], vcc
	s_cbranch_execz .LBB25_25
; %bb.24:
	v_lshlrev_b32_e32 v24, 2, v22
	v_mov_b32_e32 v25, 0
	v_lshl_add_u64 v[28:29], v[20:21], 0, v[24:25]
	v_sub_u32_e32 v24, v22, v26
	v_lshl_add_u64 v[24:25], v[24:25], 2, v[18:19]
	v_cmp_lt_i32_e32 vcc, v22, v26
	s_nop 1
	v_cndmask_b32_e32 v23, v25, v29, vcc
	v_cndmask_b32_e32 v22, v24, v28, vcc
	global_load_dword v9, v[22:23], off
.LBB25_25:
	s_or_b64 exec, exec, s[0:1]
	v_add_u32_e32 v22, 0xa00, v16
	;; [unrolled: 17-line block ×3, first 2 shown]
	v_cmp_lt_i32_e32 vcc, v22, v17
	s_and_saveexec_b64 s[0:1], vcc
	s_cbranch_execz .LBB25_29
; %bb.28:
	v_lshlrev_b32_e32 v24, 2, v22
	v_mov_b32_e32 v25, 0
	v_lshl_add_u64 v[28:29], v[20:21], 0, v[24:25]
	v_sub_u32_e32 v24, v22, v26
	v_lshl_add_u64 v[24:25], v[24:25], 2, v[18:19]
	v_cmp_lt_i32_e32 vcc, v22, v26
	s_nop 1
	v_cndmask_b32_e32 v23, v25, v29, vcc
	v_cndmask_b32_e32 v22, v24, v28, vcc
	global_load_dword v11, v[22:23], off
.LBB25_29:
	s_or_b64 exec, exec, s[0:1]
	v_or_b32_e32 v22, 0xc00, v16
	v_cmp_lt_i32_e32 vcc, v22, v17
	s_and_saveexec_b64 s[0:1], vcc
	s_cbranch_execz .LBB25_31
; %bb.30:
	v_lshlrev_b32_e32 v24, 2, v22
	v_mov_b32_e32 v25, 0
	v_lshl_add_u64 v[28:29], v[20:21], 0, v[24:25]
	v_sub_u32_e32 v24, v22, v26
	v_lshl_add_u64 v[24:25], v[24:25], 2, v[18:19]
	v_cmp_lt_i32_e32 vcc, v22, v26
	s_nop 1
	v_cndmask_b32_e32 v23, v25, v29, vcc
	v_cndmask_b32_e32 v22, v24, v28, vcc
	global_load_dword v12, v[22:23], off
.LBB25_31:
	s_or_b64 exec, exec, s[0:1]
	v_add_u32_e32 v22, 0xd00, v16
	v_cmp_lt_i32_e32 vcc, v22, v17
	s_and_saveexec_b64 s[0:1], vcc
	s_cbranch_execz .LBB25_33
; %bb.32:
	v_lshlrev_b32_e32 v24, 2, v22
	v_mov_b32_e32 v25, 0
	v_lshl_add_u64 v[28:29], v[20:21], 0, v[24:25]
	v_sub_u32_e32 v24, v22, v26
	v_lshl_add_u64 v[24:25], v[24:25], 2, v[18:19]
	v_cmp_lt_i32_e32 vcc, v22, v26
	s_nop 1
	v_cndmask_b32_e32 v23, v25, v29, vcc
	v_cndmask_b32_e32 v22, v24, v28, vcc
	global_load_dword v13, v[22:23], off
.LBB25_33:
	s_or_b64 exec, exec, s[0:1]
	v_add_u32_e32 v22, 0xe00, v16
	;; [unrolled: 17-line block ×3, first 2 shown]
	v_cmp_lt_i32_e32 vcc, v22, v17
	s_and_saveexec_b64 s[0:1], vcc
	s_cbranch_execz .LBB25_37
; %bb.36:
	v_lshlrev_b32_e32 v24, 2, v22
	v_mov_b32_e32 v25, 0
	v_lshl_add_u64 v[28:29], v[20:21], 0, v[24:25]
	v_sub_u32_e32 v24, v22, v26
	v_lshl_add_u64 v[24:25], v[24:25], 2, v[18:19]
	v_cmp_lt_i32_e32 vcc, v22, v26
	s_nop 1
	v_cndmask_b32_e32 v23, v25, v29, vcc
	v_cndmask_b32_e32 v22, v24, v28, vcc
	global_load_dword v15, v[22:23], off
.LBB25_37:
	s_or_b64 exec, exec, s[0:1]
	v_lshlrev_b32_e32 v22, 2, v16
	s_waitcnt vmcnt(0)
	ds_write2st64_b32 v22, v2, v3 offset0:84 offset1:88
	ds_write2st64_b32 v22, v4, v5 offset0:92 offset1:96
	;; [unrolled: 1-line block ×8, first 2 shown]
	v_lshlrev_b32_e32 v0, 4, v16
	v_min_i32_e32 v1, v17, v0
	v_lshlrev_b32_e32 v0, 2, v26
	v_add_u32_e32 v2, 0x4800, v0
	v_sub_u32_e32 v0, v1, v27
	v_max_i32_e32 v0, 0, v0
	v_min_i32_e32 v3, v26, v1
	v_cmp_lt_i32_e32 vcc, v0, v3
	s_waitcnt lgkmcnt(0)
	s_barrier
	s_and_saveexec_b64 s[0:1], vcc
	s_cbranch_execz .LBB25_41
; %bb.38:
	v_lshl_add_u32 v4, v1, 2, v2
	v_add_u32_e32 v4, 0x400, v4
	s_mov_b64 s[2:3], 0
.LBB25_39:                              ; =>This Inner Loop Header: Depth=1
	v_add_u32_e32 v5, v3, v0
	v_lshrrev_b32_e32 v5, 1, v5
	v_not_b32_e32 v7, v5
	v_lshlrev_b32_e32 v6, 2, v5
	v_lshl_add_u32 v7, v7, 2, v4
	ds_read_b32 v6, v6 offset:19456
	ds_read_b32 v7, v7
	v_add_u32_e32 v8, 1, v5
	s_waitcnt lgkmcnt(0)
	v_cmp_lt_i32_e32 vcc, v7, v6
	s_nop 1
	v_cndmask_b32_e32 v3, v3, v5, vcc
	v_cndmask_b32_e32 v0, v8, v0, vcc
	v_cmp_ge_i32_e32 vcc, v0, v3
	s_or_b64 s[2:3], vcc, s[2:3]
	s_andn2_b64 exec, exec, s[2:3]
	s_cbranch_execnz .LBB25_39
; %bb.40:
	s_or_b64 exec, exec, s[2:3]
.LBB25_41:
	s_or_b64 exec, exec, s[0:1]
	v_sub_u32_e32 v7, v1, v0
	v_add_u32_e32 v3, 0x4800, v22
	v_cmp_lt_i32_e32 vcc, v7, v27
	v_mov_b32_e32 v5, 0
	s_and_saveexec_b64 s[2:3], vcc
	s_cbranch_execz .LBB25_71
; %bb.42:
	v_lshl_add_u32 v5, v7, 2, v2
	ds_read_b32 v6, v5 offset:1024
	v_mov_b32_e32 v4, 0
	v_cmp_lt_i32_e32 vcc, 0, v0
	v_mov_b32_e32 v8, 0
	s_and_saveexec_b64 s[0:1], vcc
	s_cbranch_execnz .LBB25_47
; %bb.43:
	s_or_b64 exec, exec, s[0:1]
	v_cmp_lt_i32_e32 vcc, v4, v8
	s_and_saveexec_b64 s[0:1], vcc
	s_cbranch_execnz .LBB25_48
.LBB25_44:
	s_or_b64 exec, exec, s[0:1]
	v_cmp_lt_i32_e32 vcc, v4, v8
	s_and_saveexec_b64 s[0:1], vcc
	s_cbranch_execnz .LBB25_49
.LBB25_45:
	s_or_b64 exec, exec, s[0:1]
	v_cmp_lt_i32_e32 vcc, v4, v8
	s_and_saveexec_b64 s[0:1], vcc
	s_cbranch_execnz .LBB25_50
.LBB25_46:
	s_or_b64 exec, exec, s[0:1]
	v_cmp_lt_i32_e32 vcc, v4, v8
	s_and_saveexec_b64 s[0:1], vcc
	s_cbranch_execnz .LBB25_51
	s_branch .LBB25_54
.LBB25_47:
	s_movk_i32 s4, 0x1ff
	v_mul_lo_u32 v4, v0, s4
	v_ashrrev_i32_e32 v8, 9, v4
	v_lshlrev_b32_e32 v4, 2, v8
	ds_read_b32 v4, v4 offset:19456
	v_add_u32_e32 v9, 1, v8
	s_waitcnt lgkmcnt(0)
	v_cmp_lt_i32_e32 vcc, v4, v6
	s_nop 1
	v_cndmask_b32_e32 v4, 0, v9, vcc
	v_cndmask_b32_e32 v8, v8, v0, vcc
	s_or_b64 exec, exec, s[0:1]
	v_cmp_lt_i32_e32 vcc, v4, v8
	s_and_saveexec_b64 s[0:1], vcc
	s_cbranch_execz .LBB25_44
.LBB25_48:
	v_sub_u32_e32 v9, v4, v8
	v_lshl_add_u32 v9, v8, 7, v9
	v_ashrrev_i32_e32 v9, 7, v9
	v_lshlrev_b32_e32 v10, 2, v9
	ds_read_b32 v10, v10 offset:19456
	v_add_u32_e32 v11, 1, v9
	s_waitcnt lgkmcnt(0)
	v_cmp_lt_i32_e32 vcc, v10, v6
	s_nop 1
	v_cndmask_b32_e32 v4, v4, v11, vcc
	v_cndmask_b32_e32 v8, v9, v8, vcc
	s_or_b64 exec, exec, s[0:1]
	v_cmp_lt_i32_e32 vcc, v4, v8
	s_and_saveexec_b64 s[0:1], vcc
	s_cbranch_execz .LBB25_45
.LBB25_49:
	v_sub_u32_e32 v9, v4, v8
	v_lshl_add_u32 v9, v8, 5, v9
	v_ashrrev_i32_e32 v9, 5, v9
	v_lshlrev_b32_e32 v10, 2, v9
	ds_read_b32 v10, v10 offset:19456
	v_add_u32_e32 v11, 1, v9
	s_waitcnt lgkmcnt(0)
	v_cmp_lt_i32_e32 vcc, v10, v6
	s_nop 1
	v_cndmask_b32_e32 v4, v4, v11, vcc
	v_cndmask_b32_e32 v8, v9, v8, vcc
	s_or_b64 exec, exec, s[0:1]
	v_cmp_lt_i32_e32 vcc, v4, v8
	s_and_saveexec_b64 s[0:1], vcc
	s_cbranch_execz .LBB25_46
.LBB25_50:
	v_sub_u32_e32 v9, v4, v8
	v_lshl_add_u32 v9, v8, 4, v9
	v_ashrrev_i32_e32 v9, 4, v9
	v_lshlrev_b32_e32 v10, 2, v9
	ds_read_b32 v10, v10 offset:19456
	v_add_u32_e32 v11, 1, v9
	s_waitcnt lgkmcnt(0)
	v_cmp_lt_i32_e32 vcc, v10, v6
	s_nop 1
	v_cndmask_b32_e32 v4, v4, v11, vcc
	v_cndmask_b32_e32 v8, v9, v8, vcc
	s_or_b64 exec, exec, s[0:1]
	v_cmp_lt_i32_e32 vcc, v4, v8
	s_and_saveexec_b64 s[0:1], vcc
	s_cbranch_execz .LBB25_54
.LBB25_51:
	s_mov_b64 s[4:5], 0
.LBB25_52:                              ; =>This Inner Loop Header: Depth=1
	v_sub_u32_e32 v9, v4, v8
	v_lshl_add_u32 v9, v8, 1, v9
	v_ashrrev_i32_e32 v9, 1, v9
	v_lshlrev_b32_e32 v10, 2, v9
	ds_read_b32 v10, v10 offset:19456
	v_add_u32_e32 v11, 1, v9
	s_waitcnt lgkmcnt(0)
	v_cmp_lt_i32_e32 vcc, v10, v6
	s_nop 1
	v_cndmask_b32_e32 v4, v4, v11, vcc
	v_cndmask_b32_e32 v8, v9, v8, vcc
	v_cmp_ge_i32_e32 vcc, v4, v8
	s_or_b64 s[4:5], vcc, s[4:5]
	s_andn2_b64 exec, exec, s[4:5]
	s_cbranch_execnz .LBB25_52
; %bb.53:
	s_or_b64 exec, exec, s[4:5]
.LBB25_54:
	s_or_b64 exec, exec, s[0:1]
	v_mov_b32_e32 v8, 0
	v_cmp_lt_i32_e32 vcc, 0, v7
	v_mov_b32_e32 v9, v7
	s_and_saveexec_b64 s[0:1], vcc
	s_cbranch_execnz .LBB25_59
; %bb.55:
	s_or_b64 exec, exec, s[0:1]
	v_cmp_lt_i32_e32 vcc, v8, v9
	s_and_saveexec_b64 s[0:1], vcc
	s_cbranch_execnz .LBB25_60
.LBB25_56:
	s_or_b64 exec, exec, s[0:1]
	v_cmp_lt_i32_e32 vcc, v8, v9
	s_and_saveexec_b64 s[0:1], vcc
	s_cbranch_execnz .LBB25_61
.LBB25_57:
	s_or_b64 exec, exec, s[0:1]
	v_cmp_lt_i32_e32 vcc, v8, v9
	s_and_saveexec_b64 s[0:1], vcc
	s_cbranch_execnz .LBB25_62
.LBB25_58:
	s_or_b64 exec, exec, s[0:1]
	v_cmp_lt_i32_e32 vcc, v8, v9
	s_and_saveexec_b64 s[0:1], vcc
	s_cbranch_execnz .LBB25_63
	s_branch .LBB25_66
.LBB25_59:
	s_movk_i32 s4, 0x1ff
	v_mul_lo_u32 v8, v7, s4
	v_lshrrev_b32_e32 v9, 9, v8
	v_lshl_add_u32 v8, v9, 2, v2
	ds_read_b32 v8, v8 offset:1024
	v_add_u32_e32 v10, 1, v9
	s_waitcnt lgkmcnt(0)
	v_cmp_lt_i32_e32 vcc, v8, v6
	s_nop 1
	v_cndmask_b32_e32 v8, 0, v10, vcc
	v_cndmask_b32_e32 v9, v9, v7, vcc
	s_or_b64 exec, exec, s[0:1]
	v_cmp_lt_i32_e32 vcc, v8, v9
	s_and_saveexec_b64 s[0:1], vcc
	s_cbranch_execz .LBB25_56
.LBB25_60:
	v_sub_u32_e32 v10, v8, v9
	v_lshl_add_u32 v10, v9, 7, v10
	v_ashrrev_i32_e32 v10, 7, v10
	v_lshl_add_u32 v11, v10, 2, v2
	ds_read_b32 v11, v11 offset:1024
	v_add_u32_e32 v12, 1, v10
	s_waitcnt lgkmcnt(0)
	v_cmp_lt_i32_e32 vcc, v11, v6
	s_nop 1
	v_cndmask_b32_e32 v8, v8, v12, vcc
	v_cndmask_b32_e32 v9, v10, v9, vcc
	s_or_b64 exec, exec, s[0:1]
	v_cmp_lt_i32_e32 vcc, v8, v9
	s_and_saveexec_b64 s[0:1], vcc
	s_cbranch_execz .LBB25_57
.LBB25_61:
	v_sub_u32_e32 v10, v8, v9
	v_lshl_add_u32 v10, v9, 5, v10
	v_ashrrev_i32_e32 v10, 5, v10
	v_lshl_add_u32 v11, v10, 2, v2
	ds_read_b32 v11, v11 offset:1024
	v_add_u32_e32 v12, 1, v10
	s_waitcnt lgkmcnt(0)
	v_cmp_lt_i32_e32 vcc, v11, v6
	s_nop 1
	v_cndmask_b32_e32 v8, v8, v12, vcc
	v_cndmask_b32_e32 v9, v10, v9, vcc
	s_or_b64 exec, exec, s[0:1]
	v_cmp_lt_i32_e32 vcc, v8, v9
	s_and_saveexec_b64 s[0:1], vcc
	s_cbranch_execz .LBB25_58
.LBB25_62:
	v_sub_u32_e32 v10, v8, v9
	v_lshl_add_u32 v10, v9, 4, v10
	v_ashrrev_i32_e32 v10, 4, v10
	v_lshl_add_u32 v11, v10, 2, v2
	ds_read_b32 v11, v11 offset:1024
	v_add_u32_e32 v12, 1, v10
	s_waitcnt lgkmcnt(0)
	v_cmp_lt_i32_e32 vcc, v11, v6
	s_nop 1
	v_cndmask_b32_e32 v8, v8, v12, vcc
	v_cndmask_b32_e32 v9, v10, v9, vcc
	s_or_b64 exec, exec, s[0:1]
	v_cmp_lt_i32_e32 vcc, v8, v9
	s_and_saveexec_b64 s[0:1], vcc
	s_cbranch_execz .LBB25_66
.LBB25_63:
	s_mov_b64 s[4:5], 0
.LBB25_64:                              ; =>This Inner Loop Header: Depth=1
	v_sub_u32_e32 v10, v8, v9
	v_lshl_add_u32 v10, v9, 1, v10
	v_ashrrev_i32_e32 v10, 1, v10
	v_lshl_add_u32 v11, v10, 2, v2
	ds_read_b32 v11, v11 offset:1024
	v_add_u32_e32 v12, 1, v10
	s_waitcnt lgkmcnt(0)
	v_cmp_lt_i32_e32 vcc, v11, v6
	s_nop 1
	v_cndmask_b32_e32 v8, v8, v12, vcc
	v_cndmask_b32_e32 v9, v10, v9, vcc
	v_cmp_ge_i32_e32 vcc, v8, v9
	s_or_b64 s[4:5], vcc, s[4:5]
	s_andn2_b64 exec, exec, s[4:5]
	s_cbranch_execnz .LBB25_64
; %bb.65:
	s_or_b64 exec, exec, s[4:5]
.LBB25_66:
	s_or_b64 exec, exec, s[0:1]
	v_sub_u32_e32 v0, v0, v4
	v_sub_u32_e32 v9, v7, v8
	v_add_u32_e32 v2, v9, v0
	v_ashrrev_i32_e32 v0, 1, v2
	v_max_i32_e32 v0, v0, v9
	v_add3_u32 v8, v8, v0, 1
	v_min_i32_e32 v8, v8, v27
	v_sub_u32_e32 v8, v8, v7
	v_mov_b32_e32 v7, 0
	v_cmp_lt_i32_e32 vcc, 0, v8
	s_and_saveexec_b64 s[0:1], vcc
	s_cbranch_execz .LBB25_70
; %bb.67:
	v_mov_b32_e32 v7, 0
	s_mov_b64 s[4:5], 0
.LBB25_68:                              ; =>This Inner Loop Header: Depth=1
	v_add_u32_e32 v10, v7, v8
	v_lshrrev_b32_e32 v10, 1, v10
	v_lshl_add_u32 v11, v10, 2, v5
	ds_read_b32 v11, v11 offset:1024
	v_add_u32_e32 v12, 1, v10
	s_waitcnt lgkmcnt(0)
	v_cmp_lt_i32_e32 vcc, v6, v11
	s_nop 1
	v_cndmask_b32_e32 v7, v12, v7, vcc
	v_cndmask_b32_e32 v8, v8, v10, vcc
	v_cmp_ge_i32_e32 vcc, v7, v8
	s_or_b64 s[4:5], vcc, s[4:5]
	s_andn2_b64 exec, exec, s[4:5]
	s_cbranch_execnz .LBB25_68
; %bb.69:
	s_or_b64 exec, exec, s[4:5]
.LBB25_70:
	s_or_b64 exec, exec, s[0:1]
	v_add_u32_e32 v5, v7, v9
	s_waitcnt lgkmcnt(0)
	v_min_i32_e32 v6, v5, v0
	v_sub_u32_e32 v2, v2, v6
	v_add_u32_e32 v6, 1, v6
	v_cmp_eq_u32_e32 vcc, v2, v6
	v_cmp_lt_i32_e64 s[0:1], v0, v5
	s_and_b64 s[0:1], s[0:1], vcc
	v_add_u32_e32 v0, v2, v4
	v_cndmask_b32_e64 v5, 0, 1, s[0:1]
.LBB25_71:
	s_or_b64 exec, exec, s[2:3]
	v_add_u32_e32 v1, v5, v1
	v_sub_u32_e32 v7, v1, v0
	v_lshlrev_b32_e32 v2, 16, v26
	v_or_b32_e32 v2, v2, v27
	v_lshl_or_b32 v4, v0, 16, v7
	v_subrev_co_u32_e64 v5, s[0:1], 1, v16
	s_nop 1
	v_cndmask_b32_e64 v2, v4, v2, s[0:1]
	v_mov_b32_e32 v4, 0xff
	v_cndmask_b32_e64 v4, v5, v4, s[0:1]
	v_lshlrev_b32_e32 v4, 2, v4
	ds_write_b32 v4, v2 offset:18432
	v_add_u32_e32 v2, v7, v26
	s_waitcnt lgkmcnt(0)
	s_barrier
	v_lshlrev_b32_e32 v5, 2, v0
	v_lshlrev_b32_e32 v4, 2, v2
	ds_read_b32 v3, v3
	ds_read_b32 v17, v5 offset:19456
	ds_read_b32 v6, v4 offset:19456
	s_waitcnt lgkmcnt(2)
	v_cmp_le_i32_sdwa s[4:5], v3, v7 src0_sel:WORD_0 src1_sel:DWORD
	v_cmp_le_i32_sdwa s[6:7], sext(v3), v0 src0_sel:WORD_1 src1_sel:DWORD
	s_waitcnt lgkmcnt(0)
	v_cmp_lt_i32_e32 vcc, v6, v17
	v_mov_b32_e32 v28, v17
	v_cndmask_b32_e64 v8, 0, 1, s[6:7]
	v_cndmask_b32_e64 v7, 0, 1, vcc
	s_or_b64 vcc, s[6:7], s[4:5]
	v_cndmask_b32_e32 v7, v7, v8, vcc
	v_and_b32_e32 v7, 1, v7
	v_cmp_eq_u32_e64 s[2:3], 1, v7
	s_xor_b64 s[16:17], s[2:3], -1
	s_and_saveexec_b64 s[2:3], s[16:17]
; %bb.72:
	v_add_u32_e32 v5, 0x4800, v5
	ds_read_b32 v28, v5 offset:1028
	v_add_u32_e32 v0, 1, v0
; %bb.73:
	s_or_b64 exec, exec, s[2:3]
	s_xor_b64 s[6:7], s[6:7], -1
	v_cmp_lt_i32_e64 s[2:3], v17, v6
	s_nop 1
	v_cndmask_b32_e64 v5, 0, 1, s[2:3]
	s_and_b64 s[2:3], s[4:5], s[6:7]
	v_cndmask_b32_e64 v7, 0, 1, s[2:3]
	v_cndmask_b32_e32 v5, v5, v7, vcc
	v_and_b32_e32 v5, 1, v5
	v_cmp_eq_u32_e32 vcc, 1, v5
	s_xor_b64 s[4:5], vcc, -1
	s_and_saveexec_b64 s[2:3], s[4:5]
; %bb.74:
	v_add_u32_e32 v4, 0x4800, v4
	ds_read_b32 v6, v4 offset:1028
	v_add_u32_e32 v2, 1, v2
; %bb.75:
	s_or_b64 exec, exec, s[2:3]
	v_add_u32_sdwa v7, v3, v26 dst_sel:DWORD dst_unused:UNUSED_PAD src0_sel:WORD_0 src1_sel:DWORD
	v_cmp_ge_i32_e64 s[2:3], v2, v7
	v_cmp_ge_i32_sdwa s[6:7], v0, sext(v3) src0_sel:DWORD src1_sel:WORD_1
	s_waitcnt lgkmcnt(0)
	v_cmp_lt_i32_e64 s[4:5], v6, v28
	v_mov_b32_e32 v29, v28
	v_cndmask_b32_e64 v4, 0, 1, s[6:7]
	v_cndmask_b32_e64 v5, 0, 1, s[4:5]
	s_or_b64 s[4:5], s[6:7], s[2:3]
	v_cndmask_b32_e64 v4, v5, v4, s[4:5]
	v_and_b32_e32 v4, 1, v4
	v_cmp_eq_u32_e64 s[4:5], 1, v4
	s_xor_b64 s[16:17], s[4:5], -1
	v_mov_b32_e32 v4, v0
	s_and_saveexec_b64 s[4:5], s[16:17]
; %bb.76:
	v_lshlrev_b32_e32 v4, 2, v0
	ds_read_b32 v29, v4 offset:19460
	v_add_u32_e32 v4, 1, v0
; %bb.77:
	s_or_b64 exec, exec, s[4:5]
	v_cmp_lt_i32_e64 s[4:5], v28, v6
	s_or_b64 s[2:3], s[2:3], s[4:5]
	s_xor_b64 s[4:5], s[6:7], -1
	s_and_b64 s[6:7], s[4:5], s[2:3]
	s_xor_b64 s[4:5], s[6:7], -1
	v_mov_b32_e32 v5, v2
	s_and_saveexec_b64 s[2:3], s[4:5]
; %bb.78:
	v_lshlrev_b32_e32 v5, 2, v2
	ds_read_b32 v6, v5 offset:19460
	v_add_u32_e32 v5, 1, v2
; %bb.79:
	s_or_b64 exec, exec, s[2:3]
	v_cmp_ge_i32_e64 s[2:3], v5, v7
	v_cmp_ge_i32_sdwa s[16:17], v4, sext(v3) src0_sel:DWORD src1_sel:WORD_1
	s_waitcnt lgkmcnt(0)
	v_cmp_lt_i32_e64 s[4:5], v6, v29
	v_mov_b32_e32 v30, v29
	v_cndmask_b32_e64 v8, 0, 1, s[16:17]
	v_cndmask_b32_e64 v9, 0, 1, s[4:5]
	s_or_b64 s[4:5], s[16:17], s[2:3]
	v_cndmask_b32_e64 v8, v9, v8, s[4:5]
	v_and_b32_e32 v8, 1, v8
	v_cmp_eq_u32_e64 s[4:5], 1, v8
	s_xor_b64 s[18:19], s[4:5], -1
	v_mov_b32_e32 v8, v4
	s_and_saveexec_b64 s[4:5], s[18:19]
; %bb.80:
	v_lshlrev_b32_e32 v8, 2, v4
	ds_read_b32 v30, v8 offset:19460
	v_add_u32_e32 v8, 1, v4
; %bb.81:
	s_or_b64 exec, exec, s[4:5]
	v_cmp_lt_i32_e64 s[4:5], v29, v6
	s_or_b64 s[2:3], s[2:3], s[4:5]
	s_xor_b64 s[4:5], s[16:17], -1
	s_and_b64 s[22:23], s[4:5], s[2:3]
	s_xor_b64 s[4:5], s[22:23], -1
	v_mov_b32_e32 v9, v5
	s_and_saveexec_b64 s[2:3], s[4:5]
; %bb.82:
	v_lshlrev_b32_e32 v6, 2, v5
	ds_read_b32 v6, v6 offset:19460
	v_add_u32_e32 v9, 1, v5
; %bb.83:
	s_or_b64 exec, exec, s[2:3]
	;; [unrolled: 33-line block ×13, first 2 shown]
	v_cmp_ge_i32_e64 s[2:3], v54, v7
	v_cmp_ge_i32_sdwa s[42:43], v53, sext(v3) src0_sel:DWORD src1_sel:WORD_1
	s_waitcnt lgkmcnt(0)
	v_cmp_lt_i32_e64 s[4:5], v6, v41
	v_cndmask_b32_e64 v42, 0, 1, s[42:43]
	s_nop 0
	v_cndmask_b32_e64 v55, 0, 1, s[4:5]
	s_or_b64 s[4:5], s[42:43], s[2:3]
	v_cndmask_b32_e64 v42, v55, v42, s[4:5]
	v_and_b32_e32 v42, 1, v42
	v_cmp_eq_u32_e64 s[4:5], 1, v42
	s_xor_b64 s[44:45], s[4:5], -1
	v_mov_b32_e32 v42, v41
	v_mov_b32_e32 v55, v53
	s_and_saveexec_b64 s[4:5], s[44:45]
; %bb.128:
	v_lshlrev_b32_e32 v42, 2, v53
	ds_read_b32 v42, v42 offset:19460
	v_add_u32_e32 v55, 1, v53
; %bb.129:
	s_or_b64 exec, exec, s[4:5]
	v_cmp_lt_i32_e64 s[4:5], v41, v6
	s_or_b64 s[2:3], s[2:3], s[4:5]
	s_xor_b64 s[4:5], s[42:43], -1
	s_and_b64 s[42:43], s[4:5], s[2:3]
	s_xor_b64 s[4:5], s[42:43], -1
	v_mov_b32_e32 v56, v54
	s_and_saveexec_b64 s[2:3], s[4:5]
; %bb.130:
	v_lshlrev_b32_e32 v6, 2, v54
	ds_read_b32 v6, v6 offset:19460
	v_add_u32_e32 v56, 1, v54
; %bb.131:
	s_or_b64 exec, exec, s[2:3]
	v_cmp_lt_i32_sdwa s[44:45], v55, sext(v3) src0_sel:DWORD src1_sel:WORD_1
	v_cmp_ge_i32_e64 s[2:3], v56, v7
	s_waitcnt lgkmcnt(0)
	v_cmp_lt_i32_e64 s[4:5], v42, v6
	v_add_u32_e32 v6, v56, v55
	v_add_u32_sdwa v3, v7, sext(v3) dst_sel:DWORD dst_unused:UNUSED_PAD src0_sel:DWORD src1_sel:WORD_1
	s_or_b64 s[4:5], s[2:3], s[4:5]
	v_cmp_lt_i32_e64 s[2:3], v6, v3
	s_and_b64 s[2:3], s[44:45], s[2:3]
	v_mov_b32_e32 v6, 0x8000
	s_and_b64 s[2:3], s[2:3], s[4:5]
	v_add_u32_e32 v7, v54, v53
	v_cndmask_b32_e64 v6, 0, v6, s[2:3]
	v_cmp_lt_i32_e64 s[2:3], v7, v3
	v_mov_b32_e32 v7, 0x4000
	s_and_b64 s[2:3], s[2:3], s[42:43]
	v_add_u32_e32 v51, v52, v51
	v_cndmask_b32_e64 v7, 0, v7, s[2:3]
	v_cmp_lt_i32_e64 s[2:3], v51, v3
	;; [unrolled: 5-line block ×9, first 2 shown]
	s_and_b64 s[2:3], s[2:3], s[24:25]
	v_add_u32_e32 v12, v13, v12
	v_cndmask_b32_e64 v14, 0, 64, s[2:3]
	v_cmp_lt_i32_e64 s[2:3], v12, v3
	v_add_u32_e32 v10, v11, v10
	s_and_b64 s[16:17], s[2:3], s[16:17]
	v_cmp_lt_i32_e64 s[2:3], v10, v3
	v_add_u32_e32 v8, v9, v8
	s_and_b64 s[18:19], s[2:3], s[18:19]
	;; [unrolled: 3-line block ×5, first 2 shown]
	v_cmp_lt_i32_e64 s[2:3], v1, v3
	s_and_b64 s[26:27], s[2:3], vcc
	v_cndmask_b32_e64 v4, 0, 4, s[22:23]
	v_cndmask_b32_e64 v0, 0, 2, s[24:25]
	;; [unrolled: 1-line block ×5, first 2 shown]
	v_or3_b32 v0, v0, v1, v4
	v_cndmask_b32_e64 v12, 0, 32, s[16:17]
	v_or3_b32 v0, v0, v8, v10
	v_or3_b32 v48, v0, v12, v14
	v_or_b32_e32 v47, v22, v48
	v_or3_b32 v46, v24, v43, v47
	v_or3_b32 v45, v45, v50, v46
	;; [unrolled: 1-line block ×4, first 2 shown]
	v_bcnt_u32_b32 v8, v43, 0
	s_cmp_lg_u32 s14, 0
	v_mov_b32_e32 v9, 0
	s_barrier
	s_cbranch_scc0 .LBB25_159
; %bb.132:
	v_mbcnt_lo_u32_b32 v0, -1, 0
	v_mbcnt_hi_u32_b32 v24, -1, v0
	v_mov_b32_e32 v1, v9
	v_mov_b32_dpp v0, v8 row_shr:1 row_mask:0xf bank_mask:0xf
	v_and_b32_e32 v4, 15, v24
	v_mov_b32_dpp v3, v9 row_shr:1 row_mask:0xf bank_mask:0xf
	v_mov_b32_e32 v2, v9
	v_lshl_add_u64 v[0:1], v[0:1], 0, v[8:9]
	v_lshl_add_u64 v[2:3], v[2:3], 0, v[0:1]
	v_cmp_eq_u32_e32 vcc, 0, v4
	v_and_b32_e32 v7, 16, v24
	v_cmp_eq_u32_e64 s[2:3], 0, v24
	v_cndmask_b32_e64 v1, v3, 0, vcc
	v_cndmask_b32_e32 v5, v0, v8, vcc
	v_cndmask_b32_e32 v0, v2, v8, vcc
	v_mov_b32_dpp v3, v1 row_shr:2 row_mask:0xf bank_mask:0xf
	v_mov_b32_dpp v2, v5 row_shr:2 row_mask:0xf bank_mask:0xf
	v_lshl_add_u64 v[2:3], v[2:3], 0, v[0:1]
	v_cmp_lt_u32_e32 vcc, 1, v4
	v_cmp_ne_u32_e64 s[4:5], 0, v24
	s_nop 0
	v_cndmask_b32_e32 v1, v1, v3, vcc
	v_cndmask_b32_e32 v5, v5, v2, vcc
	;; [unrolled: 1-line block ×3, first 2 shown]
	v_mov_b32_dpp v3, v1 row_shr:4 row_mask:0xf bank_mask:0xf
	v_mov_b32_dpp v2, v5 row_shr:4 row_mask:0xf bank_mask:0xf
	v_lshl_add_u64 v[2:3], v[2:3], 0, v[0:1]
	v_cmp_lt_u32_e32 vcc, 3, v4
	s_nop 1
	v_cndmask_b32_e32 v1, v1, v3, vcc
	v_cndmask_b32_e32 v5, v5, v2, vcc
	;; [unrolled: 1-line block ×3, first 2 shown]
	v_mov_b32_dpp v3, v1 row_shr:8 row_mask:0xf bank_mask:0xf
	v_mov_b32_dpp v2, v5 row_shr:8 row_mask:0xf bank_mask:0xf
	v_lshl_add_u64 v[2:3], v[2:3], 0, v[0:1]
	v_cmp_lt_u32_e32 vcc, 7, v4
	s_nop 1
	v_cndmask_b32_e32 v3, v1, v3, vcc
	v_cndmask_b32_e32 v6, v5, v2, vcc
	;; [unrolled: 1-line block ×3, first 2 shown]
	v_mov_b32_dpp v1, v3 row_bcast:15 row_mask:0xf bank_mask:0xf
	v_mov_b32_dpp v0, v6 row_bcast:15 row_mask:0xf bank_mask:0xf
	v_lshl_add_u64 v[4:5], v[0:1], 0, v[2:3]
	v_cmp_eq_u32_e32 vcc, 0, v7
	s_nop 1
	v_cndmask_b32_e32 v0, v5, v3, vcc
	v_cndmask_b32_e32 v1, v4, v6, vcc
	s_nop 0
	v_mov_b32_dpp v7, v0 row_bcast:31 row_mask:0xf bank_mask:0xf
	v_mov_b32_dpp v6, v1 row_bcast:31 row_mask:0xf bank_mask:0xf
	v_mov_b64_e32 v[0:1], v[8:9]
	s_and_saveexec_b64 s[6:7], s[4:5]
; %bb.133:
	v_cndmask_b32_e32 v1, v5, v3, vcc
	v_cndmask_b32_e32 v0, v4, v2, vcc
	v_cmp_lt_u32_e32 vcc, 31, v24
	s_nop 1
	v_cndmask_b32_e32 v3, 0, v7, vcc
	v_cndmask_b32_e32 v2, 0, v6, vcc
	v_lshl_add_u64 v[0:1], v[2:3], 0, v[0:1]
; %bb.134:
	s_or_b64 exec, exec, s[6:7]
	v_and_b32_e32 v3, 0x3c0, v16
	v_min_u32_e32 v3, 0xc0, v3
	v_lshrrev_b32_e32 v2, 6, v16
	v_or_b32_e32 v3, 63, v3
	v_cmp_eq_u32_e32 vcc, v16, v3
	v_lshlrev_b32_e32 v2, 3, v2
	s_and_saveexec_b64 s[4:5], vcc
; %bb.135:
	ds_write_b64 v2, v[0:1] offset:18432
; %bb.136:
	s_or_b64 exec, exec, s[4:5]
	v_cmp_gt_u32_e32 vcc, 4, v16
	s_waitcnt lgkmcnt(0)
	s_barrier
	s_and_saveexec_b64 s[6:7], vcc
	s_cbranch_execz .LBB25_138
; %bb.137:
	v_lshlrev_b32_e32 v3, 3, v16
	ds_read_b64 v[4:5], v3 offset:18432
	v_mov_b32_e32 v6, 0
	v_mov_b32_e32 v11, v6
	v_and_b32_e32 v12, 3, v24
	v_cmp_eq_u32_e32 vcc, 0, v12
	s_waitcnt lgkmcnt(0)
	v_mov_b32_dpp v10, v4 row_shr:1 row_mask:0xf bank_mask:0xf
	v_mov_b32_dpp v7, v5 row_shr:1 row_mask:0xf bank_mask:0xf
	v_lshl_add_u64 v[10:11], v[4:5], 0, v[10:11]
	v_lshl_add_u64 v[6:7], v[6:7], 0, v[10:11]
	v_cndmask_b32_e32 v11, v7, v5, vcc
	v_cndmask_b32_e32 v10, v10, v4, vcc
	v_cmp_ne_u32_e64 s[4:5], 1, v12
	v_mov_b32_dpp v11, v11 row_shr:2 row_mask:0xf bank_mask:0xf
	v_mov_b32_dpp v10, v10 row_shr:2 row_mask:0xf bank_mask:0xf
	v_cndmask_b32_e64 v10, 0, v10, s[4:5]
	v_cndmask_b32_e64 v11, 0, v11, s[4:5]
	v_lshl_add_u64 v[6:7], v[10:11], 0, v[6:7]
	v_cndmask_b32_e32 v5, v7, v5, vcc
	v_cndmask_b32_e32 v4, v6, v4, vcc
	ds_write_b64 v3, v[4:5] offset:18432
.LBB25_138:
	s_or_b64 exec, exec, s[6:7]
	v_cmp_gt_u32_e32 vcc, 64, v16
	v_cmp_lt_u32_e64 s[4:5], 63, v16
	s_waitcnt lgkmcnt(0)
	s_barrier
                                        ; implicit-def: $vgpr10_vgpr11
	s_and_saveexec_b64 s[6:7], s[4:5]
	s_cbranch_execz .LBB25_140
; %bb.139:
	ds_read_b64 v[10:11], v2 offset:18424
	s_waitcnt lgkmcnt(0)
	v_lshl_add_u64 v[0:1], v[10:11], 0, v[0:1]
.LBB25_140:
	s_or_b64 exec, exec, s[6:7]
	v_add_u32_e32 v1, -1, v24
	v_and_b32_e32 v2, 64, v24
	v_cmp_lt_i32_e64 s[4:5], v1, v2
	s_nop 1
	v_cndmask_b32_e64 v1, v1, v24, s[4:5]
	v_lshlrev_b32_e32 v1, 2, v1
	ds_bpermute_b32 v49, v1, v0
	s_and_saveexec_b64 s[28:29], vcc
	s_cbranch_execz .LBB25_164
; %bb.141:
	v_mov_b32_e32 v3, 0
	ds_read_b64 v[0:1], v3 offset:18456
	s_and_saveexec_b64 s[4:5], s[2:3]
	s_cbranch_execz .LBB25_143
; %bb.142:
	s_add_i32 s6, s14, 64
	s_mov_b32 s7, 0
	s_lshl_b64 s[6:7], s[6:7], 4
	s_add_u32 s6, s12, s6
	s_addc_u32 s7, s13, s7
	v_mov_b32_e32 v2, 1
	v_mov_b64_e32 v[4:5], s[6:7]
	s_waitcnt lgkmcnt(0)
	;;#ASMSTART
	global_store_dwordx4 v[4:5], v[0:3] off sc1	
s_waitcnt vmcnt(0)
	;;#ASMEND
.LBB25_143:
	s_or_b64 exec, exec, s[4:5]
	v_xad_u32 v12, v24, -1, s14
	v_add_u32_e32 v2, 64, v12
	v_lshl_add_u64 v[14:15], v[2:3], 4, s[12:13]
	;;#ASMSTART
	global_load_dwordx4 v[4:7], v[14:15] off sc1	
s_waitcnt vmcnt(0)
	;;#ASMEND
	s_nop 0
	v_cmp_eq_u16_sdwa s[6:7], v6, v3 src0_sel:BYTE_0 src1_sel:DWORD
	s_and_saveexec_b64 s[4:5], s[6:7]
	s_cbranch_execz .LBB25_147
; %bb.144:
	s_mov_b64 s[6:7], 0
	v_mov_b32_e32 v2, 0
.LBB25_145:                             ; =>This Inner Loop Header: Depth=1
	;;#ASMSTART
	global_load_dwordx4 v[4:7], v[14:15] off sc1	
s_waitcnt vmcnt(0)
	;;#ASMEND
	s_nop 0
	v_cmp_ne_u16_sdwa s[30:31], v6, v2 src0_sel:BYTE_0 src1_sel:DWORD
	s_or_b64 s[6:7], s[30:31], s[6:7]
	s_andn2_b64 exec, exec, s[6:7]
	s_cbranch_execnz .LBB25_145
; %bb.146:
	s_or_b64 exec, exec, s[6:7]
.LBB25_147:
	s_or_b64 exec, exec, s[4:5]
	v_mov_b32_e32 v50, 2
	v_cmp_eq_u16_sdwa s[4:5], v6, v50 src0_sel:BYTE_0 src1_sel:DWORD
	v_lshlrev_b64 v[14:15], v24, -1
	v_and_b32_e32 v51, 63, v24
	v_and_b32_e32 v2, s5, v15
	v_or_b32_e32 v2, 0x80000000, v2
	v_and_b32_e32 v3, s4, v14
	v_ffbl_b32_e32 v2, v2
	v_add_u32_e32 v2, 32, v2
	v_ffbl_b32_e32 v3, v3
	v_cmp_ne_u32_e32 vcc, 63, v51
	v_min_u32_e32 v7, v3, v2
	v_mov_b32_e32 v13, 0
	v_addc_co_u32_e32 v2, vcc, 0, v24, vcc
	v_lshlrev_b32_e32 v52, 2, v2
	ds_bpermute_b32 v2, v52, v4
	ds_bpermute_b32 v23, v52, v5
	v_mov_b32_e32 v3, v13
	v_mov_b32_e32 v22, v13
	v_cmp_lt_u32_e64 s[4:5], v51, v7
	s_waitcnt lgkmcnt(1)
	v_lshl_add_u64 v[2:3], v[4:5], 0, v[2:3]
	v_cmp_gt_u32_e32 vcc, 62, v51
	s_waitcnt lgkmcnt(0)
	v_lshl_add_u64 v[22:23], v[22:23], 0, v[2:3]
	v_cndmask_b32_e64 v25, v4, v2, s[4:5]
	v_cndmask_b32_e64 v2, 0, 2, vcc
	v_cndmask_b32_e64 v3, v5, v23, s[4:5]
	v_add_lshl_u32 v53, v2, v24, 2
	ds_bpermute_b32 v56, v53, v25
	ds_bpermute_b32 v57, v53, v3
	v_cndmask_b32_e64 v2, v4, v22, s[4:5]
	v_add_u32_e32 v54, 2, v51
	v_cmp_gt_u32_e32 vcc, v54, v7
	v_cmp_gt_u32_e64 s[6:7], 60, v51
	s_waitcnt lgkmcnt(0)
	v_lshl_add_u64 v[22:23], v[56:57], 0, v[2:3]
	v_cndmask_b32_e32 v3, v23, v3, vcc
	v_cndmask_b32_e64 v23, 0, 4, s[6:7]
	v_cndmask_b32_e32 v25, v22, v25, vcc
	v_add_lshl_u32 v55, v23, v24, 2
	ds_bpermute_b32 v58, v55, v25
	ds_bpermute_b32 v59, v55, v3
	v_cndmask_b32_e32 v2, v22, v2, vcc
	v_add_u32_e32 v56, 4, v51
	v_cmp_gt_u32_e32 vcc, v56, v7
	v_cmp_gt_u32_e64 s[6:7], 56, v51
	s_waitcnt lgkmcnt(0)
	v_lshl_add_u64 v[22:23], v[58:59], 0, v[2:3]
	v_cndmask_b32_e32 v3, v23, v3, vcc
	v_cndmask_b32_e64 v23, 0, 8, s[6:7]
	v_cndmask_b32_e32 v25, v22, v25, vcc
	v_add_lshl_u32 v57, v23, v24, 2
	ds_bpermute_b32 v60, v57, v25
	ds_bpermute_b32 v61, v57, v3
	v_cndmask_b32_e32 v2, v22, v2, vcc
	;; [unrolled: 12-line block ×3, first 2 shown]
	v_add_u32_e32 v60, 16, v51
	v_cmp_gt_u32_e32 vcc, v60, v7
	v_mov_b32_e32 v61, 0x80
	s_waitcnt lgkmcnt(0)
	v_lshl_add_u64 v[22:23], v[62:63], 0, v[2:3]
	v_cndmask_b32_e32 v62, v23, v3, vcc
	v_cndmask_b32_e32 v25, v22, v25, vcc
	v_lshl_or_b32 v61, v24, 2, v61
	ds_bpermute_b32 v24, v61, v25
	ds_bpermute_b32 v25, v61, v62
	v_add_u32_e32 v62, 32, v51
	s_and_saveexec_b64 s[6:7], s[4:5]
	s_cbranch_execz .LBB25_149
; %bb.148:
	v_cndmask_b32_e32 v3, v23, v3, vcc
	v_cndmask_b32_e32 v2, v22, v2, vcc
	v_cmp_le_u32_e32 vcc, v62, v7
	s_waitcnt lgkmcnt(0)
	s_nop 0
	v_cndmask_b32_e32 v5, 0, v25, vcc
	v_cndmask_b32_e32 v4, 0, v24, vcc
	v_lshl_add_u64 v[4:5], v[4:5], 0, v[2:3]
.LBB25_149:
	s_or_b64 exec, exec, s[6:7]
	s_branch .LBB25_152
.LBB25_150:                             ;   in Loop: Header=BB25_152 Depth=1
	s_or_b64 exec, exec, s[6:7]
	v_subrev_u32_e32 v12, 64, v12
	v_lshl_add_u64 v[4:5], v[4:5], 0, v[2:3]
	s_mov_b64 s[4:5], 0
.LBB25_151:                             ;   in Loop: Header=BB25_152 Depth=1
	s_and_b64 vcc, exec, s[4:5]
	s_cbranch_vccnz .LBB25_160
.LBB25_152:                             ; =>This Loop Header: Depth=1
                                        ;     Child Loop BB25_155 Depth 2
	v_cmp_ne_u16_sdwa s[4:5], v6, v50 src0_sel:BYTE_0 src1_sel:DWORD
	v_mov_b64_e32 v[2:3], v[4:5]
	s_cmp_lg_u64 s[4:5], exec
	s_mov_b64 s[4:5], -1
                                        ; implicit-def: $vgpr4_vgpr5
	s_cbranch_scc1 .LBB25_151
; %bb.153:                              ;   in Loop: Header=BB25_152 Depth=1
	v_lshl_add_u64 v[22:23], v[12:13], 4, s[12:13]
	;;#ASMSTART
	global_load_dwordx4 v[4:7], v[22:23] off sc1	
s_waitcnt vmcnt(0)
	;;#ASMEND
	s_nop 0
	v_cmp_eq_u16_sdwa s[6:7], v6, v13 src0_sel:BYTE_0 src1_sel:DWORD
	s_and_saveexec_b64 s[4:5], s[6:7]
	s_cbranch_execz .LBB25_157
; %bb.154:                              ;   in Loop: Header=BB25_152 Depth=1
	s_mov_b64 s[6:7], 0
.LBB25_155:                             ;   Parent Loop BB25_152 Depth=1
                                        ; =>  This Inner Loop Header: Depth=2
	;;#ASMSTART
	global_load_dwordx4 v[4:7], v[22:23] off sc1	
s_waitcnt vmcnt(0)
	;;#ASMEND
	s_nop 0
	v_cmp_ne_u16_sdwa s[30:31], v6, v13 src0_sel:BYTE_0 src1_sel:DWORD
	s_or_b64 s[6:7], s[30:31], s[6:7]
	s_andn2_b64 exec, exec, s[6:7]
	s_cbranch_execnz .LBB25_155
; %bb.156:                              ;   in Loop: Header=BB25_152 Depth=1
	s_or_b64 exec, exec, s[6:7]
.LBB25_157:                             ;   in Loop: Header=BB25_152 Depth=1
	s_or_b64 exec, exec, s[4:5]
	v_cmp_eq_u16_sdwa s[4:5], v6, v50 src0_sel:BYTE_0 src1_sel:DWORD
	s_waitcnt lgkmcnt(0)
	ds_bpermute_b32 v25, v52, v5
	v_mov_b32_e32 v24, v13
	v_and_b32_e32 v22, s4, v14
	v_and_b32_e32 v7, s5, v15
	v_ffbl_b32_e32 v23, v22
	ds_bpermute_b32 v22, v52, v4
	v_or_b32_e32 v7, 0x80000000, v7
	v_ffbl_b32_e32 v7, v7
	v_add_u32_e32 v7, 32, v7
	v_min_u32_e32 v7, v23, v7
	v_mov_b32_e32 v23, v13
	s_waitcnt lgkmcnt(0)
	v_lshl_add_u64 v[22:23], v[4:5], 0, v[22:23]
	v_lshl_add_u64 v[24:25], v[24:25], 0, v[22:23]
	v_cmp_lt_u32_e64 s[4:5], v51, v7
	v_cmp_gt_u32_e32 vcc, v54, v7
	s_nop 0
	v_cndmask_b32_e64 v63, v4, v22, s[4:5]
	v_cndmask_b32_e64 v23, v5, v25, s[4:5]
	ds_bpermute_b32 v64, v53, v63
	ds_bpermute_b32 v65, v53, v23
	v_cndmask_b32_e64 v22, v4, v24, s[4:5]
	s_waitcnt lgkmcnt(0)
	v_lshl_add_u64 v[24:25], v[64:65], 0, v[22:23]
	v_cndmask_b32_e32 v63, v24, v63, vcc
	v_cndmask_b32_e32 v23, v25, v23, vcc
	ds_bpermute_b32 v64, v55, v63
	ds_bpermute_b32 v65, v55, v23
	v_cndmask_b32_e32 v22, v24, v22, vcc
	v_cmp_gt_u32_e32 vcc, v56, v7
	s_waitcnt lgkmcnt(0)
	v_lshl_add_u64 v[24:25], v[64:65], 0, v[22:23]
	v_cndmask_b32_e32 v63, v24, v63, vcc
	v_cndmask_b32_e32 v23, v25, v23, vcc
	ds_bpermute_b32 v64, v57, v63
	ds_bpermute_b32 v65, v57, v23
	v_cndmask_b32_e32 v22, v24, v22, vcc
	v_cmp_gt_u32_e32 vcc, v58, v7
	s_waitcnt lgkmcnt(0)
	v_lshl_add_u64 v[24:25], v[64:65], 0, v[22:23]
	v_cndmask_b32_e32 v63, v24, v63, vcc
	v_cndmask_b32_e32 v23, v25, v23, vcc
	ds_bpermute_b32 v64, v59, v63
	ds_bpermute_b32 v65, v59, v23
	v_cndmask_b32_e32 v22, v24, v22, vcc
	v_cmp_gt_u32_e32 vcc, v60, v7
	s_waitcnt lgkmcnt(0)
	v_lshl_add_u64 v[24:25], v[64:65], 0, v[22:23]
	v_cndmask_b32_e32 v64, v25, v23, vcc
	v_cndmask_b32_e32 v63, v24, v63, vcc
	ds_bpermute_b32 v63, v61, v63
	ds_bpermute_b32 v64, v61, v64
	s_and_saveexec_b64 s[6:7], s[4:5]
	s_cbranch_execz .LBB25_150
; %bb.158:                              ;   in Loop: Header=BB25_152 Depth=1
	v_cndmask_b32_e32 v5, v25, v23, vcc
	v_cndmask_b32_e32 v4, v24, v22, vcc
	v_cmp_le_u32_e32 vcc, v62, v7
	s_waitcnt lgkmcnt(0)
	s_nop 0
	v_cndmask_b32_e32 v23, 0, v64, vcc
	v_cndmask_b32_e32 v22, 0, v63, vcc
	v_lshl_add_u64 v[4:5], v[22:23], 0, v[4:5]
	s_branch .LBB25_150
.LBB25_159:
                                        ; implicit-def: $vgpr0_vgpr1
                                        ; implicit-def: $vgpr4_vgpr5
	s_movk_i32 s4, 0x4820
	s_cbranch_execnz .LBB25_165
	s_branch .LBB25_174
.LBB25_160:
	s_and_saveexec_b64 s[4:5], s[2:3]
	s_cbranch_execz .LBB25_162
; %bb.161:
	s_add_i32 s6, s14, 64
	s_mov_b32 s7, 0
	s_lshl_b64 s[6:7], s[6:7], 4
	s_add_u32 s6, s12, s6
	s_addc_u32 s7, s13, s7
	v_lshl_add_u64 v[4:5], v[2:3], 0, v[0:1]
	v_mov_b32_e32 v6, 2
	v_mov_b32_e32 v7, 0
	v_mov_b64_e32 v[12:13], s[6:7]
	;;#ASMSTART
	global_store_dwordx4 v[12:13], v[4:7] off sc1	
s_waitcnt vmcnt(0)
	;;#ASMEND
	ds_write_b128 v7, v[0:3] offset:18464
.LBB25_162:
	s_or_b64 exec, exec, s[4:5]
	s_and_b64 exec, exec, s[0:1]
; %bb.163:
	v_mov_b32_e32 v0, 0
	ds_write_b64 v0, v[2:3] offset:18456
.LBB25_164:
	s_or_b64 exec, exec, s[28:29]
	v_mov_b32_e32 v0, 0
	s_waitcnt lgkmcnt(0)
	s_barrier
	ds_read_b64 v[2:3], v0 offset:18456
	s_waitcnt lgkmcnt(0)
	s_barrier
	ds_read_b64 v[0:1], v0 offset:18472
	v_cndmask_b32_e64 v4, v49, v10, s[2:3]
	v_cndmask_b32_e64 v5, 0, v11, s[2:3]
	;; [unrolled: 1-line block ×4, first 2 shown]
	v_lshl_add_u64 v[4:5], v[2:3], 0, v[4:5]
	s_movk_i32 s4, 0x4820
	s_branch .LBB25_174
.LBB25_165:
	s_waitcnt lgkmcnt(0)
	v_mov_b32_e32 v0, 0
	v_mbcnt_lo_u32_b32 v1, -1, 0
	v_mbcnt_hi_u32_b32 v4, -1, v1
	v_mov_b32_dpp v2, v8 row_shr:1 row_mask:0xf bank_mask:0xf
	v_mov_b32_e32 v3, v0
	v_and_b32_e32 v5, 15, v4
	v_mov_b32_dpp v1, v0 row_shr:1 row_mask:0xf bank_mask:0xf
	v_lshl_add_u64 v[2:3], v[2:3], 0, v[8:9]
	v_lshl_add_u64 v[0:1], v[0:1], 0, v[2:3]
	v_cmp_eq_u32_e32 vcc, 0, v5
	v_cmp_ne_u32_e64 s[4:5], 0, v4
	s_nop 0
	v_cndmask_b32_e64 v1, v1, 0, vcc
	v_cndmask_b32_e32 v6, v2, v8, vcc
	v_cndmask_b32_e32 v0, v0, v8, vcc
	v_mov_b32_dpp v3, v1 row_shr:2 row_mask:0xf bank_mask:0xf
	v_mov_b32_dpp v2, v6 row_shr:2 row_mask:0xf bank_mask:0xf
	v_lshl_add_u64 v[2:3], v[2:3], 0, v[0:1]
	v_cmp_lt_u32_e32 vcc, 1, v5
	s_nop 1
	v_cndmask_b32_e32 v1, v1, v3, vcc
	v_cndmask_b32_e32 v6, v6, v2, vcc
	v_cndmask_b32_e32 v0, v0, v2, vcc
	v_mov_b32_dpp v3, v1 row_shr:4 row_mask:0xf bank_mask:0xf
	v_mov_b32_dpp v2, v6 row_shr:4 row_mask:0xf bank_mask:0xf
	v_lshl_add_u64 v[2:3], v[2:3], 0, v[0:1]
	v_cmp_lt_u32_e32 vcc, 3, v5
	s_nop 1
	v_cndmask_b32_e32 v1, v1, v3, vcc
	;; [unrolled: 8-line block ×3, first 2 shown]
	v_cndmask_b32_e32 v5, v6, v2, vcc
	v_cndmask_b32_e32 v0, v0, v2, vcc
	v_mov_b32_dpp v3, v1 row_bcast:15 row_mask:0xf bank_mask:0xf
	v_mov_b32_dpp v2, v5 row_bcast:15 row_mask:0xf bank_mask:0xf
	v_and_b32_e32 v6, 16, v4
	v_lshl_add_u64 v[2:3], v[2:3], 0, v[0:1]
	v_cmp_eq_u32_e64 s[2:3], 0, v6
	v_cmp_eq_u32_e32 vcc, 0, v4
	s_nop 0
	v_cndmask_b32_e64 v6, v3, v1, s[2:3]
	v_cndmask_b32_e64 v5, v2, v5, s[2:3]
	s_nop 0
	v_mov_b32_dpp v6, v6 row_bcast:31 row_mask:0xf bank_mask:0xf
	v_mov_b32_dpp v5, v5 row_bcast:31 row_mask:0xf bank_mask:0xf
	s_and_saveexec_b64 s[6:7], s[4:5]
; %bb.166:
	v_cndmask_b32_e64 v1, v3, v1, s[2:3]
	v_cndmask_b32_e64 v0, v2, v0, s[2:3]
	v_cmp_lt_u32_e64 s[2:3], 31, v4
	s_nop 1
	v_cndmask_b32_e64 v3, 0, v6, s[2:3]
	v_cndmask_b32_e64 v2, 0, v5, s[2:3]
	v_lshl_add_u64 v[8:9], v[2:3], 0, v[0:1]
; %bb.167:
	s_or_b64 exec, exec, s[6:7]
	v_and_b32_e32 v1, 0x3c0, v16
	v_min_u32_e32 v1, 0xc0, v1
	v_lshrrev_b32_e32 v0, 6, v16
	v_or_b32_e32 v1, 63, v1
	v_cmp_eq_u32_e64 s[2:3], v16, v1
	v_lshlrev_b32_e32 v5, 3, v0
	s_and_saveexec_b64 s[4:5], s[2:3]
; %bb.168:
	ds_write_b64 v5, v[8:9] offset:18432
; %bb.169:
	s_or_b64 exec, exec, s[4:5]
	v_cmp_gt_u32_e64 s[2:3], 4, v16
	s_waitcnt lgkmcnt(0)
	s_barrier
	s_and_saveexec_b64 s[6:7], s[2:3]
	s_cbranch_execz .LBB25_171
; %bb.170:
	v_lshlrev_b32_e32 v9, 3, v16
	ds_read_b64 v[0:1], v9 offset:18432
	v_mov_b32_e32 v2, 0
	v_mov_b32_e32 v7, v2
	v_and_b32_e32 v10, 3, v4
	v_cmp_eq_u32_e64 s[2:3], 0, v10
	s_waitcnt lgkmcnt(0)
	v_mov_b32_dpp v6, v0 row_shr:1 row_mask:0xf bank_mask:0xf
	v_mov_b32_dpp v3, v1 row_shr:1 row_mask:0xf bank_mask:0xf
	v_lshl_add_u64 v[6:7], v[0:1], 0, v[6:7]
	v_lshl_add_u64 v[2:3], v[2:3], 0, v[6:7]
	v_cndmask_b32_e64 v7, v3, v1, s[2:3]
	v_cndmask_b32_e64 v6, v6, v0, s[2:3]
	v_cmp_ne_u32_e64 s[4:5], 1, v10
	v_mov_b32_dpp v7, v7 row_shr:2 row_mask:0xf bank_mask:0xf
	v_mov_b32_dpp v6, v6 row_shr:2 row_mask:0xf bank_mask:0xf
	v_cndmask_b32_e64 v6, 0, v6, s[4:5]
	v_cndmask_b32_e64 v7, 0, v7, s[4:5]
	v_lshl_add_u64 v[2:3], v[6:7], 0, v[2:3]
	v_cndmask_b32_e64 v1, v3, v1, s[2:3]
	v_cndmask_b32_e64 v0, v2, v0, s[2:3]
	ds_write_b64 v9, v[0:1] offset:18432
.LBB25_171:
	s_or_b64 exec, exec, s[6:7]
	v_cmp_lt_u32_e64 s[2:3], 63, v16
	v_mov_b64_e32 v[0:1], 0
	v_mov_b64_e32 v[2:3], 0
	s_waitcnt lgkmcnt(0)
	s_barrier
	s_and_saveexec_b64 s[4:5], s[2:3]
; %bb.172:
	ds_read_b64 v[2:3], v5 offset:18424
; %bb.173:
	s_or_b64 exec, exec, s[4:5]
	v_add_u32_e32 v5, -1, v4
	v_and_b32_e32 v6, 64, v4
	v_cmp_lt_i32_e64 s[2:3], v5, v6
	s_waitcnt lgkmcnt(0)
	v_add_u32_e32 v3, v2, v8
	s_movk_i32 s4, 0x4818
	v_cndmask_b32_e64 v4, v5, v4, s[2:3]
	v_lshlrev_b32_e32 v4, 2, v4
	ds_bpermute_b32 v3, v4, v3
	s_waitcnt lgkmcnt(0)
	v_cndmask_b32_e32 v4, v3, v2, vcc
.LBB25_174:
	v_mov_b32_e32 v2, s4
	ds_read_b64 v[2:3], v2
	s_waitcnt lgkmcnt(1)
	v_sub_u32_e32 v4, v4, v0
	s_waitcnt lgkmcnt(0)
	s_barrier
	s_and_saveexec_b64 s[2:3], s[26:27]
	s_cbranch_execnz .LBB25_225
; %bb.175:
	s_or_b64 exec, exec, s[2:3]
	s_and_saveexec_b64 s[2:3], s[24:25]
	s_cbranch_execnz .LBB25_226
.LBB25_176:
	s_or_b64 exec, exec, s[2:3]
	s_and_saveexec_b64 s[2:3], s[22:23]
	s_cbranch_execnz .LBB25_227
.LBB25_177:
	s_or_b64 exec, exec, s[2:3]
	s_and_saveexec_b64 s[2:3], s[20:21]
	s_cbranch_execnz .LBB25_228
.LBB25_178:
	s_or_b64 exec, exec, s[2:3]
	s_and_saveexec_b64 s[2:3], s[18:19]
	s_cbranch_execnz .LBB25_229
.LBB25_179:
	s_or_b64 exec, exec, s[2:3]
	s_and_saveexec_b64 s[2:3], s[16:17]
.LBB25_180:
	v_lshlrev_b32_e32 v5, 2, v4
	v_add_u32_e32 v4, 1, v4
	ds_write_b32 v5, v32 offset:19456
.LBB25_181:
	s_or_b64 exec, exec, s[2:3]
	v_and_b32_e32 v5, 64, v48
	v_cmp_ne_u32_e32 vcc, 0, v5
	s_and_saveexec_b64 s[2:3], vcc
; %bb.182:
	v_lshlrev_b32_e32 v5, 2, v4
	v_add_u32_e32 v4, 1, v4
	ds_write_b32 v5, v33 offset:19456
; %bb.183:
	s_or_b64 exec, exec, s[2:3]
	v_and_b32_e32 v5, 0x80, v47
	v_cmp_ne_u32_e32 vcc, 0, v5
	s_and_saveexec_b64 s[2:3], vcc
; %bb.184:
	v_lshlrev_b32_e32 v5, 2, v4
	v_add_u32_e32 v4, 1, v4
	ds_write_b32 v5, v34 offset:19456
; %bb.185:
	;; [unrolled: 9-line block ×9, first 2 shown]
	s_or_b64 exec, exec, s[2:3]
	v_and_b32_e32 v5, 0x8000, v43
	v_cmp_ne_u32_e32 vcc, 0, v5
	s_and_saveexec_b64 s[2:3], vcc
; %bb.200:
	v_lshlrev_b32_e32 v4, 2, v4
	ds_write_b32 v4, v42 offset:19456
; %bb.201:
	s_or_b64 exec, exec, s[2:3]
	v_cmp_lt_i32_e32 vcc, v16, v2
	s_waitcnt lgkmcnt(0)
	s_barrier
	s_and_saveexec_b64 s[2:3], vcc
	s_cbranch_execz .LBB25_209
; %bb.202:
	v_xad_u32 v8, v16, -1, v2
	s_movk_i32 s4, 0xff
	v_cmp_lt_u32_e32 vcc, s4, v8
	s_mov_b64 s[6:7], -1
	v_lshlrev_b64 v[4:5], 2, v[0:1]
	v_mov_b32_e32 v6, v16
	s_and_saveexec_b64 s[4:5], vcc
	s_cbranch_execz .LBB25_206
; %bb.203:
	v_lshrrev_b32_e32 v8, 8, v8
	v_add_u32_e32 v12, 1, v8
	v_and_b32_e32 v13, 0x1fffffe, v12
	v_add_u32_e32 v17, 0x100, v16
	v_mov_b32_e32 v8, 0x4c00
	v_lshl_add_u64 v[6:7], s[8:9], 0, v[4:5]
	v_lshl_add_u32 v14, v16, 2, v8
	s_mov_b64 s[6:7], 0
	v_mov_b32_e32 v9, 0
	v_mov_b32_e32 v15, v13
	v_mov_b64_e32 v[10:11], v[16:17]
.LBB25_204:                             ; =>This Inner Loop Header: Depth=1
	ds_read2st64_b32 v[22:23], v14 offset1:4
	v_add_u32_e32 v15, -2, v15
	v_mov_b32_e32 v8, v10
	v_cmp_eq_u32_e32 vcc, 0, v15
	v_add_u32_e32 v10, 0x200, v10
	v_add_u32_e32 v14, 0x800, v14
	v_lshl_add_u64 v[24:25], v[8:9], 2, v[6:7]
	v_mov_b32_e32 v8, v11
	v_add_u32_e32 v11, 0x200, v11
	s_or_b64 s[6:7], vcc, s[6:7]
	v_lshl_add_u64 v[28:29], v[8:9], 2, v[6:7]
	s_waitcnt lgkmcnt(0)
	global_store_dword v[24:25], v22, off
	global_store_dword v[28:29], v23, off
	s_andn2_b64 exec, exec, s[6:7]
	s_cbranch_execnz .LBB25_204
; %bb.205:
	s_or_b64 exec, exec, s[6:7]
	v_cmp_ne_u32_e32 vcc, v12, v13
	v_lshl_add_u32 v6, v13, 8, v16
	s_orn2_b64 s[6:7], vcc, exec
.LBB25_206:
	s_or_b64 exec, exec, s[4:5]
	s_and_b64 exec, exec, s[6:7]
	s_cbranch_execz .LBB25_209
; %bb.207:
	v_mov_b32_e32 v7, 0x4c00
	v_lshl_add_u32 v8, v6, 2, v7
	v_mov_b32_e32 v7, 0
	v_lshl_add_u64 v[4:5], s[8:9], 0, v[4:5]
	v_lshl_add_u64 v[4:5], v[6:7], 2, v[4:5]
	s_mov_b64 s[4:5], 0
	s_mov_b64 s[6:7], 0x400
.LBB25_208:                             ; =>This Inner Loop Header: Depth=1
	ds_read_b32 v7, v8
	v_add_u32_e32 v6, 0x100, v6
	v_cmp_ge_i32_e32 vcc, v6, v2
	v_add_u32_e32 v8, 0x400, v8
	s_or_b64 s[4:5], vcc, s[4:5]
	s_waitcnt lgkmcnt(0)
	global_store_dword v[4:5], v7, off
	v_lshl_add_u64 v[4:5], v[4:5], 0, s[6:7]
	s_andn2_b64 exec, exec, s[4:5]
	s_cbranch_execnz .LBB25_208
.LBB25_209:
	s_or_b64 exec, exec, s[2:3]
	s_and_saveexec_b64 s[2:3], s[0:1]
	s_cbranch_execz .LBB25_211
; %bb.210:
	v_mov_b32_e32 v4, 0
	v_lshl_add_u64 v[0:1], v[2:3], 0, v[0:1]
	global_store_dwordx2 v4, v[0:1], s[10:11]
.LBB25_211:
	s_or_b64 exec, exec, s[2:3]
	s_mov_b64 s[0:1], 0
.LBB25_212:
	s_and_b64 vcc, exec, s[0:1]
	s_cbranch_vccz .LBB25_396
; %bb.213:
	v_mov_b32_e32 v17, 0
	v_lshlrev_b32_e32 v0, 2, v16
	v_mov_b32_e32 v1, v17
	v_sub_u32_e32 v4, v16, v26
	v_mov_b32_e32 v5, v17
	v_lshl_add_u64 v[2:3], v[20:21], 0, v[0:1]
	v_lshl_add_u64 v[4:5], v[4:5], 2, v[18:19]
	v_cmp_lt_i32_e32 vcc, v16, v26
	v_add_u32_e32 v8, 0x100, v16
	s_mov_b64 s[0:1], 0x400
	v_cndmask_b32_e32 v5, v5, v3, vcc
	v_cndmask_b32_e32 v4, v4, v2, vcc
	v_sub_u32_e32 v6, v8, v26
	v_mov_b32_e32 v7, v17
	global_load_dword v1, v[4:5], off
	v_lshl_add_u64 v[4:5], v[2:3], 0, s[0:1]
	v_lshl_add_u64 v[6:7], v[6:7], 2, v[18:19]
	v_cmp_lt_i32_e32 vcc, v8, v26
	s_mov_b64 s[0:1], 0x800
	v_mov_b32_e32 v9, v17
	v_cndmask_b32_e32 v5, v7, v5, vcc
	v_cndmask_b32_e32 v4, v6, v4, vcc
	global_load_dword v4, v[4:5], off
	v_add_u32_e32 v5, 0x200, v16
	v_sub_u32_e32 v8, v5, v26
	v_lshl_add_u64 v[6:7], v[2:3], 0, s[0:1]
	v_lshl_add_u64 v[8:9], v[8:9], 2, v[18:19]
	v_cmp_lt_i32_e32 vcc, v5, v26
	v_add_u32_e32 v10, 0x300, v16
	s_mov_b64 s[0:1], 0xc00
	v_cndmask_b32_e32 v7, v9, v7, vcc
	v_cndmask_b32_e32 v6, v8, v6, vcc
	v_sub_u32_e32 v8, v10, v26
	v_mov_b32_e32 v9, v17
	global_load_dword v5, v[6:7], off
	v_lshl_add_u64 v[6:7], v[2:3], 0, s[0:1]
	v_lshl_add_u64 v[8:9], v[8:9], 2, v[18:19]
	v_cmp_lt_i32_e32 vcc, v10, v26
	v_mov_b32_e32 v11, v17
	v_add_u32_e32 v12, 0x500, v16
	v_cndmask_b32_e32 v7, v9, v7, vcc
	v_cndmask_b32_e32 v6, v8, v6, vcc
	global_load_dword v6, v[6:7], off
	v_or_b32_e32 v7, 0x400, v16
	v_lshlrev_b32_e32 v8, 2, v7
	v_mov_b32_e32 v9, v17
	v_sub_u32_e32 v10, v7, v26
	v_lshl_add_u64 v[8:9], v[20:21], 0, v[8:9]
	v_lshl_add_u64 v[10:11], v[10:11], 2, v[18:19]
	v_cmp_lt_i32_e32 vcc, v7, v26
	s_mov_b64 s[0:1], 0x1400
	v_mov_b32_e32 v13, v17
	v_cndmask_b32_e32 v9, v11, v9, vcc
	v_cndmask_b32_e32 v8, v10, v8, vcc
	v_sub_u32_e32 v10, v12, v26
	v_mov_b32_e32 v11, v17
	global_load_dword v7, v[8:9], off
	v_lshl_add_u64 v[8:9], v[2:3], 0, s[0:1]
	v_lshl_add_u64 v[10:11], v[10:11], 2, v[18:19]
	v_cmp_lt_i32_e32 vcc, v12, v26
	s_mov_b64 s[0:1], 0x1800
	v_add_u32_e32 v14, 0x700, v16
	v_cndmask_b32_e32 v9, v11, v9, vcc
	v_cndmask_b32_e32 v8, v10, v8, vcc
	global_load_dword v8, v[8:9], off
	v_add_u32_e32 v9, 0x600, v16
	v_sub_u32_e32 v12, v9, v26
	v_lshl_add_u64 v[10:11], v[2:3], 0, s[0:1]
	v_lshl_add_u64 v[12:13], v[12:13], 2, v[18:19]
	v_cmp_lt_i32_e32 vcc, v9, v26
	s_mov_b64 s[0:1], 0x1c00
	v_mov_b32_e32 v15, v17
	v_cndmask_b32_e32 v11, v13, v11, vcc
	v_cndmask_b32_e32 v10, v12, v10, vcc
	v_sub_u32_e32 v12, v14, v26
	v_mov_b32_e32 v13, v17
	global_load_dword v9, v[10:11], off
	v_lshl_add_u64 v[10:11], v[2:3], 0, s[0:1]
	v_lshl_add_u64 v[12:13], v[12:13], 2, v[18:19]
	v_cmp_lt_i32_e32 vcc, v14, v26
	v_add_u32_e32 v22, 0x900, v16
	s_mov_b64 s[0:1], 0x2400
	v_cndmask_b32_e32 v11, v13, v11, vcc
	v_cndmask_b32_e32 v10, v12, v10, vcc
	global_load_dword v10, v[10:11], off
	v_or_b32_e32 v11, 0x800, v16
	v_lshlrev_b32_e32 v12, 2, v11
	v_mov_b32_e32 v13, v17
	v_sub_u32_e32 v14, v11, v26
	v_lshl_add_u64 v[12:13], v[20:21], 0, v[12:13]
	v_lshl_add_u64 v[14:15], v[14:15], 2, v[18:19]
	v_cmp_lt_i32_e32 vcc, v11, v26
	v_mov_b32_e32 v23, v17
	v_add_u32_e32 v24, 0xb00, v16
	v_cndmask_b32_e32 v13, v15, v13, vcc
	v_cndmask_b32_e32 v12, v14, v12, vcc
	v_sub_u32_e32 v14, v22, v26
	v_mov_b32_e32 v15, v17
	global_load_dword v11, v[12:13], off
	v_lshl_add_u64 v[12:13], v[2:3], 0, s[0:1]
	v_lshl_add_u64 v[14:15], v[14:15], 2, v[18:19]
	v_cmp_lt_i32_e32 vcc, v22, v26
	s_mov_b64 s[0:1], 0x2800
	v_mov_b32_e32 v25, v17
	v_cndmask_b32_e32 v13, v15, v13, vcc
	v_cndmask_b32_e32 v12, v14, v12, vcc
	global_load_dword v12, v[12:13], off
	v_add_u32_e32 v13, 0xa00, v16
	v_sub_u32_e32 v22, v13, v26
	v_lshl_add_u64 v[14:15], v[2:3], 0, s[0:1]
	v_lshl_add_u64 v[22:23], v[22:23], 2, v[18:19]
	v_cmp_lt_i32_e32 vcc, v13, v26
	s_mov_b64 s[0:1], 0x2c00
	s_nop 0
	v_cndmask_b32_e32 v15, v23, v15, vcc
	v_cndmask_b32_e32 v14, v22, v14, vcc
	v_sub_u32_e32 v22, v24, v26
	v_mov_b32_e32 v23, v17
	global_load_dword v13, v[14:15], off
	v_lshl_add_u64 v[14:15], v[2:3], 0, s[0:1]
	v_lshl_add_u64 v[22:23], v[22:23], 2, v[18:19]
	v_cmp_lt_i32_e32 vcc, v24, v26
	v_add_u32_e32 v24, 0xd00, v16
	s_mov_b64 s[0:1], 0x3400
	v_cndmask_b32_e32 v15, v23, v15, vcc
	v_cndmask_b32_e32 v14, v22, v14, vcc
	global_load_dword v14, v[14:15], off
	v_or_b32_e32 v15, 0xc00, v16
	v_lshlrev_b32_e32 v22, 2, v15
	v_mov_b32_e32 v23, v17
	v_lshl_add_u64 v[20:21], v[20:21], 0, v[22:23]
	v_sub_u32_e32 v22, v15, v26
	v_lshl_add_u64 v[22:23], v[22:23], 2, v[18:19]
	v_cmp_lt_i32_e32 vcc, v15, v26
	s_nop 1
	v_cndmask_b32_e32 v21, v23, v21, vcc
	v_cndmask_b32_e32 v20, v22, v20, vcc
	v_sub_u32_e32 v22, v24, v26
	v_mov_b32_e32 v23, v17
	global_load_dword v15, v[20:21], off
	v_lshl_add_u64 v[20:21], v[2:3], 0, s[0:1]
	v_lshl_add_u64 v[22:23], v[22:23], 2, v[18:19]
	v_cmp_lt_i32_e32 vcc, v24, v26
	s_mov_b64 s[0:1], 0x3800
	s_nop 0
	v_cndmask_b32_e32 v21, v23, v21, vcc
	v_cndmask_b32_e32 v20, v22, v20, vcc
	global_load_dword v20, v[20:21], off
	v_add_u32_e32 v21, 0xe00, v16
	v_sub_u32_e32 v24, v21, v26
	v_lshl_add_u64 v[22:23], v[2:3], 0, s[0:1]
	v_lshl_add_u64 v[24:25], v[24:25], 2, v[18:19]
	v_cmp_lt_i32_e32 vcc, v21, v26
	v_add_u32_e32 v21, v27, v26
	s_nop 0
	v_cndmask_b32_e32 v23, v25, v23, vcc
	v_cndmask_b32_e32 v22, v24, v22, vcc
	global_load_dword v22, v[22:23], off
	v_add_u32_e32 v24, 0xf00, v16
	v_cmp_lt_i32_e32 vcc, v24, v21
	v_mov_b32_e32 v23, 0
	s_and_saveexec_b64 s[0:1], vcc
	s_cbranch_execz .LBB25_215
; %bb.214:
	s_mov_b64 s[2:3], 0x3c00
	v_sub_u32_e32 v28, v24, v26
	v_mov_b32_e32 v29, 0
	v_lshl_add_u64 v[2:3], v[2:3], 0, s[2:3]
	v_lshl_add_u64 v[18:19], v[28:29], 2, v[18:19]
	v_cmp_lt_i32_e32 vcc, v24, v26
	s_nop 1
	v_cndmask_b32_e32 v3, v19, v3, vcc
	v_cndmask_b32_e32 v2, v18, v2, vcc
	global_load_dword v23, v[2:3], off
.LBB25_215:
	s_or_b64 exec, exec, s[0:1]
	s_waitcnt vmcnt(13)
	ds_write2st64_b32 v0, v1, v4 offset0:4 offset1:8
	s_waitcnt vmcnt(11)
	ds_write2st64_b32 v0, v5, v6 offset0:12 offset1:16
	s_waitcnt vmcnt(9)
	ds_write2st64_b32 v0, v7, v8 offset0:20 offset1:24
	s_waitcnt vmcnt(7)
	ds_write2st64_b32 v0, v9, v10 offset0:28 offset1:32
	s_waitcnt vmcnt(5)
	ds_write2st64_b32 v0, v11, v12 offset0:36 offset1:40
	s_waitcnt vmcnt(3)
	ds_write2st64_b32 v0, v13, v14 offset0:44 offset1:48
	s_waitcnt vmcnt(1)
	ds_write2st64_b32 v0, v15, v20 offset0:52 offset1:56
	s_waitcnt vmcnt(0)
	ds_write2st64_b32 v0, v22, v23 offset0:60 offset1:64
	v_lshlrev_b32_e32 v1, 4, v16
	v_min_i32_e32 v2, v21, v1
	v_sub_u32_e32 v1, v2, v27
	v_max_i32_e32 v1, 0, v1
	v_min_i32_e32 v4, v26, v2
	v_lshlrev_b32_e32 v3, 2, v26
	v_cmp_lt_i32_e32 vcc, v1, v4
	s_waitcnt lgkmcnt(0)
	s_barrier
	s_and_saveexec_b64 s[0:1], vcc
	s_cbranch_execz .LBB25_219
; %bb.216:
	v_lshl_add_u32 v5, v2, 2, v3
	v_add_u32_e32 v5, 0x400, v5
	s_mov_b64 s[2:3], 0
.LBB25_217:                             ; =>This Inner Loop Header: Depth=1
	v_add_u32_e32 v6, v4, v1
	v_lshrrev_b32_e32 v6, 1, v6
	v_not_b32_e32 v8, v6
	v_lshlrev_b32_e32 v7, 2, v6
	v_lshl_add_u32 v8, v8, 2, v5
	ds_read_b32 v7, v7 offset:1024
	ds_read_b32 v8, v8
	v_add_u32_e32 v9, 1, v6
	s_waitcnt lgkmcnt(0)
	v_cmp_lt_i32_e32 vcc, v8, v7
	s_nop 1
	v_cndmask_b32_e32 v4, v4, v6, vcc
	v_cndmask_b32_e32 v1, v9, v1, vcc
	v_cmp_ge_i32_e32 vcc, v1, v4
	s_or_b64 s[2:3], vcc, s[2:3]
	s_andn2_b64 exec, exec, s[2:3]
	s_cbranch_execnz .LBB25_217
; %bb.218:
	s_or_b64 exec, exec, s[2:3]
.LBB25_219:
	s_or_b64 exec, exec, s[0:1]
	v_sub_u32_e32 v7, v2, v1
	v_cmp_lt_i32_e32 vcc, v7, v27
	v_mov_b32_e32 v5, 0
	s_and_saveexec_b64 s[2:3], vcc
	s_cbranch_execz .LBB25_254
; %bb.220:
	v_lshl_add_u32 v5, v7, 2, v3
	ds_read_b32 v6, v5 offset:1024
	v_mov_b32_e32 v4, 0
	v_cmp_lt_i32_e32 vcc, 0, v1
	v_mov_b32_e32 v8, 0
	s_and_saveexec_b64 s[0:1], vcc
	s_cbranch_execnz .LBB25_230
; %bb.221:
	s_or_b64 exec, exec, s[0:1]
	v_cmp_lt_i32_e32 vcc, v4, v8
	s_and_saveexec_b64 s[0:1], vcc
	s_cbranch_execnz .LBB25_231
.LBB25_222:
	s_or_b64 exec, exec, s[0:1]
	v_cmp_lt_i32_e32 vcc, v4, v8
	s_and_saveexec_b64 s[0:1], vcc
	s_cbranch_execnz .LBB25_232
.LBB25_223:
	s_or_b64 exec, exec, s[0:1]
	v_cmp_lt_i32_e32 vcc, v4, v8
	s_and_saveexec_b64 s[0:1], vcc
	s_cbranch_execnz .LBB25_233
.LBB25_224:
	s_or_b64 exec, exec, s[0:1]
	v_cmp_lt_i32_e32 vcc, v4, v8
	s_and_saveexec_b64 s[0:1], vcc
	s_cbranch_execnz .LBB25_234
	s_branch .LBB25_237
.LBB25_225:
	v_lshlrev_b32_e32 v5, 2, v4
	v_add_u32_e32 v4, 1, v4
	ds_write_b32 v5, v17 offset:19456
	s_or_b64 exec, exec, s[2:3]
	s_and_saveexec_b64 s[2:3], s[24:25]
	s_cbranch_execz .LBB25_176
.LBB25_226:
	v_lshlrev_b32_e32 v5, 2, v4
	v_add_u32_e32 v4, 1, v4
	ds_write_b32 v5, v28 offset:19456
	s_or_b64 exec, exec, s[2:3]
	s_and_saveexec_b64 s[2:3], s[22:23]
	s_cbranch_execz .LBB25_177
.LBB25_227:
	v_lshlrev_b32_e32 v5, 2, v4
	v_add_u32_e32 v4, 1, v4
	ds_write_b32 v5, v29 offset:19456
	s_or_b64 exec, exec, s[2:3]
	s_and_saveexec_b64 s[2:3], s[20:21]
	s_cbranch_execz .LBB25_178
.LBB25_228:
	v_lshlrev_b32_e32 v5, 2, v4
	v_add_u32_e32 v4, 1, v4
	ds_write_b32 v5, v30 offset:19456
	s_or_b64 exec, exec, s[2:3]
	s_and_saveexec_b64 s[2:3], s[18:19]
	s_cbranch_execz .LBB25_179
.LBB25_229:
	v_lshlrev_b32_e32 v5, 2, v4
	v_add_u32_e32 v4, 1, v4
	ds_write_b32 v5, v31 offset:19456
	s_or_b64 exec, exec, s[2:3]
	s_and_saveexec_b64 s[2:3], s[16:17]
	s_cbranch_execnz .LBB25_180
	s_branch .LBB25_181
.LBB25_230:
	s_movk_i32 s4, 0x1ff
	v_mul_lo_u32 v4, v1, s4
	v_ashrrev_i32_e32 v8, 9, v4
	v_lshlrev_b32_e32 v4, 2, v8
	ds_read_b32 v4, v4 offset:1024
	v_add_u32_e32 v9, 1, v8
	s_waitcnt lgkmcnt(0)
	v_cmp_lt_i32_e32 vcc, v4, v6
	s_nop 1
	v_cndmask_b32_e32 v4, 0, v9, vcc
	v_cndmask_b32_e32 v8, v8, v1, vcc
	s_or_b64 exec, exec, s[0:1]
	v_cmp_lt_i32_e32 vcc, v4, v8
	s_and_saveexec_b64 s[0:1], vcc
	s_cbranch_execz .LBB25_222
.LBB25_231:
	v_sub_u32_e32 v9, v4, v8
	v_lshl_add_u32 v9, v8, 7, v9
	v_ashrrev_i32_e32 v9, 7, v9
	v_lshlrev_b32_e32 v10, 2, v9
	ds_read_b32 v10, v10 offset:1024
	v_add_u32_e32 v11, 1, v9
	s_waitcnt lgkmcnt(0)
	v_cmp_lt_i32_e32 vcc, v10, v6
	s_nop 1
	v_cndmask_b32_e32 v4, v4, v11, vcc
	v_cndmask_b32_e32 v8, v9, v8, vcc
	s_or_b64 exec, exec, s[0:1]
	v_cmp_lt_i32_e32 vcc, v4, v8
	s_and_saveexec_b64 s[0:1], vcc
	s_cbranch_execz .LBB25_223
.LBB25_232:
	v_sub_u32_e32 v9, v4, v8
	v_lshl_add_u32 v9, v8, 5, v9
	v_ashrrev_i32_e32 v9, 5, v9
	v_lshlrev_b32_e32 v10, 2, v9
	ds_read_b32 v10, v10 offset:1024
	v_add_u32_e32 v11, 1, v9
	s_waitcnt lgkmcnt(0)
	v_cmp_lt_i32_e32 vcc, v10, v6
	s_nop 1
	v_cndmask_b32_e32 v4, v4, v11, vcc
	v_cndmask_b32_e32 v8, v9, v8, vcc
	s_or_b64 exec, exec, s[0:1]
	v_cmp_lt_i32_e32 vcc, v4, v8
	s_and_saveexec_b64 s[0:1], vcc
	s_cbranch_execz .LBB25_224
.LBB25_233:
	v_sub_u32_e32 v9, v4, v8
	v_lshl_add_u32 v9, v8, 4, v9
	v_ashrrev_i32_e32 v9, 4, v9
	v_lshlrev_b32_e32 v10, 2, v9
	ds_read_b32 v10, v10 offset:1024
	v_add_u32_e32 v11, 1, v9
	s_waitcnt lgkmcnt(0)
	v_cmp_lt_i32_e32 vcc, v10, v6
	s_nop 1
	v_cndmask_b32_e32 v4, v4, v11, vcc
	v_cndmask_b32_e32 v8, v9, v8, vcc
	s_or_b64 exec, exec, s[0:1]
	v_cmp_lt_i32_e32 vcc, v4, v8
	s_and_saveexec_b64 s[0:1], vcc
	s_cbranch_execz .LBB25_237
.LBB25_234:
	s_mov_b64 s[4:5], 0
.LBB25_235:                             ; =>This Inner Loop Header: Depth=1
	v_sub_u32_e32 v9, v4, v8
	v_lshl_add_u32 v9, v8, 1, v9
	v_ashrrev_i32_e32 v9, 1, v9
	v_lshlrev_b32_e32 v10, 2, v9
	ds_read_b32 v10, v10 offset:1024
	v_add_u32_e32 v11, 1, v9
	s_waitcnt lgkmcnt(0)
	v_cmp_lt_i32_e32 vcc, v10, v6
	s_nop 1
	v_cndmask_b32_e32 v4, v4, v11, vcc
	v_cndmask_b32_e32 v8, v9, v8, vcc
	v_cmp_ge_i32_e32 vcc, v4, v8
	s_or_b64 s[4:5], vcc, s[4:5]
	s_andn2_b64 exec, exec, s[4:5]
	s_cbranch_execnz .LBB25_235
; %bb.236:
	s_or_b64 exec, exec, s[4:5]
.LBB25_237:
	s_or_b64 exec, exec, s[0:1]
	v_mov_b32_e32 v8, 0
	v_cmp_lt_i32_e32 vcc, 0, v7
	v_mov_b32_e32 v9, v7
	s_and_saveexec_b64 s[0:1], vcc
	s_cbranch_execnz .LBB25_242
; %bb.238:
	s_or_b64 exec, exec, s[0:1]
	v_cmp_lt_i32_e32 vcc, v8, v9
	s_and_saveexec_b64 s[0:1], vcc
	s_cbranch_execnz .LBB25_243
.LBB25_239:
	s_or_b64 exec, exec, s[0:1]
	v_cmp_lt_i32_e32 vcc, v8, v9
	s_and_saveexec_b64 s[0:1], vcc
	s_cbranch_execnz .LBB25_244
.LBB25_240:
	s_or_b64 exec, exec, s[0:1]
	v_cmp_lt_i32_e32 vcc, v8, v9
	s_and_saveexec_b64 s[0:1], vcc
	s_cbranch_execnz .LBB25_245
.LBB25_241:
	s_or_b64 exec, exec, s[0:1]
	v_cmp_lt_i32_e32 vcc, v8, v9
	s_and_saveexec_b64 s[0:1], vcc
	s_cbranch_execnz .LBB25_246
	s_branch .LBB25_249
.LBB25_242:
	s_movk_i32 s4, 0x1ff
	v_mul_lo_u32 v8, v7, s4
	v_lshrrev_b32_e32 v9, 9, v8
	v_lshl_add_u32 v8, v9, 2, v3
	ds_read_b32 v8, v8 offset:1024
	v_add_u32_e32 v10, 1, v9
	s_waitcnt lgkmcnt(0)
	v_cmp_lt_i32_e32 vcc, v8, v6
	s_nop 1
	v_cndmask_b32_e32 v8, 0, v10, vcc
	v_cndmask_b32_e32 v9, v9, v7, vcc
	s_or_b64 exec, exec, s[0:1]
	v_cmp_lt_i32_e32 vcc, v8, v9
	s_and_saveexec_b64 s[0:1], vcc
	s_cbranch_execz .LBB25_239
.LBB25_243:
	v_sub_u32_e32 v10, v8, v9
	v_lshl_add_u32 v10, v9, 7, v10
	v_ashrrev_i32_e32 v10, 7, v10
	v_lshl_add_u32 v11, v10, 2, v3
	ds_read_b32 v11, v11 offset:1024
	v_add_u32_e32 v12, 1, v10
	s_waitcnt lgkmcnt(0)
	v_cmp_lt_i32_e32 vcc, v11, v6
	s_nop 1
	v_cndmask_b32_e32 v8, v8, v12, vcc
	v_cndmask_b32_e32 v9, v10, v9, vcc
	s_or_b64 exec, exec, s[0:1]
	v_cmp_lt_i32_e32 vcc, v8, v9
	s_and_saveexec_b64 s[0:1], vcc
	s_cbranch_execz .LBB25_240
.LBB25_244:
	v_sub_u32_e32 v10, v8, v9
	v_lshl_add_u32 v10, v9, 5, v10
	v_ashrrev_i32_e32 v10, 5, v10
	v_lshl_add_u32 v11, v10, 2, v3
	ds_read_b32 v11, v11 offset:1024
	v_add_u32_e32 v12, 1, v10
	s_waitcnt lgkmcnt(0)
	v_cmp_lt_i32_e32 vcc, v11, v6
	s_nop 1
	v_cndmask_b32_e32 v8, v8, v12, vcc
	v_cndmask_b32_e32 v9, v10, v9, vcc
	s_or_b64 exec, exec, s[0:1]
	v_cmp_lt_i32_e32 vcc, v8, v9
	s_and_saveexec_b64 s[0:1], vcc
	s_cbranch_execz .LBB25_241
.LBB25_245:
	v_sub_u32_e32 v10, v8, v9
	v_lshl_add_u32 v10, v9, 4, v10
	v_ashrrev_i32_e32 v10, 4, v10
	v_lshl_add_u32 v11, v10, 2, v3
	ds_read_b32 v11, v11 offset:1024
	v_add_u32_e32 v12, 1, v10
	s_waitcnt lgkmcnt(0)
	v_cmp_lt_i32_e32 vcc, v11, v6
	s_nop 1
	v_cndmask_b32_e32 v8, v8, v12, vcc
	v_cndmask_b32_e32 v9, v10, v9, vcc
	s_or_b64 exec, exec, s[0:1]
	v_cmp_lt_i32_e32 vcc, v8, v9
	s_and_saveexec_b64 s[0:1], vcc
	s_cbranch_execz .LBB25_249
.LBB25_246:
	s_mov_b64 s[4:5], 0
.LBB25_247:                             ; =>This Inner Loop Header: Depth=1
	v_sub_u32_e32 v10, v8, v9
	v_lshl_add_u32 v10, v9, 1, v10
	v_ashrrev_i32_e32 v10, 1, v10
	v_lshl_add_u32 v11, v10, 2, v3
	ds_read_b32 v11, v11 offset:1024
	v_add_u32_e32 v12, 1, v10
	s_waitcnt lgkmcnt(0)
	v_cmp_lt_i32_e32 vcc, v11, v6
	s_nop 1
	v_cndmask_b32_e32 v8, v8, v12, vcc
	v_cndmask_b32_e32 v9, v10, v9, vcc
	v_cmp_ge_i32_e32 vcc, v8, v9
	s_or_b64 s[4:5], vcc, s[4:5]
	s_andn2_b64 exec, exec, s[4:5]
	s_cbranch_execnz .LBB25_247
; %bb.248:
	s_or_b64 exec, exec, s[4:5]
.LBB25_249:
	s_or_b64 exec, exec, s[0:1]
	v_sub_u32_e32 v1, v1, v4
	v_sub_u32_e32 v10, v7, v8
	v_add_u32_e32 v9, v10, v1
	v_ashrrev_i32_e32 v1, 1, v9
	v_max_i32_e32 v1, v1, v10
	v_add3_u32 v8, v8, v1, 1
	v_min_i32_e32 v8, v8, v27
	v_sub_u32_e32 v8, v8, v7
	v_mov_b32_e32 v7, 0
	v_cmp_lt_i32_e32 vcc, 0, v8
	s_and_saveexec_b64 s[0:1], vcc
	s_cbranch_execz .LBB25_253
; %bb.250:
	v_mov_b32_e32 v7, 0
	s_mov_b64 s[4:5], 0
.LBB25_251:                             ; =>This Inner Loop Header: Depth=1
	v_add_u32_e32 v11, v7, v8
	v_lshrrev_b32_e32 v11, 1, v11
	v_lshl_add_u32 v12, v11, 2, v5
	ds_read_b32 v12, v12 offset:1024
	v_add_u32_e32 v13, 1, v11
	s_waitcnt lgkmcnt(0)
	v_cmp_lt_i32_e32 vcc, v6, v12
	s_nop 1
	v_cndmask_b32_e32 v7, v13, v7, vcc
	v_cndmask_b32_e32 v8, v8, v11, vcc
	v_cmp_ge_i32_e32 vcc, v7, v8
	s_or_b64 s[4:5], vcc, s[4:5]
	s_andn2_b64 exec, exec, s[4:5]
	s_cbranch_execnz .LBB25_251
; %bb.252:
	s_or_b64 exec, exec, s[4:5]
.LBB25_253:
	s_or_b64 exec, exec, s[0:1]
	v_add_u32_e32 v5, v7, v10
	s_waitcnt lgkmcnt(0)
	v_min_i32_e32 v6, v5, v1
	v_sub_u32_e32 v7, v9, v6
	v_add_u32_e32 v6, 1, v6
	v_cmp_eq_u32_e32 vcc, v7, v6
	v_cmp_lt_i32_e64 s[0:1], v1, v5
	s_and_b64 s[0:1], s[0:1], vcc
	v_add_u32_e32 v1, v7, v4
	v_cndmask_b32_e64 v5, 0, 1, s[0:1]
.LBB25_254:
	s_or_b64 exec, exec, s[2:3]
	v_add_u32_e32 v2, v5, v2
	v_sub_u32_e32 v5, v2, v1
	v_lshlrev_b32_e32 v4, 16, v26
	v_or_b32_e32 v4, v4, v27
	v_lshl_or_b32 v6, v1, 16, v5
	v_subrev_co_u32_e64 v7, s[0:1], 1, v16
	s_nop 1
	v_cndmask_b32_e64 v4, v6, v4, s[0:1]
	v_mov_b32_e32 v6, 0xff
	v_cndmask_b32_e64 v6, v7, v6, s[0:1]
	v_lshlrev_b32_e32 v6, 2, v6
	ds_write_b32 v6, v4
	s_waitcnt lgkmcnt(0)
	s_barrier
	v_lshlrev_b32_e32 v7, 2, v1
	v_lshl_add_u32 v4, v5, 2, v3
	ds_read_b32 v3, v0
	ds_read_b32 v22, v7 offset:1024
	ds_read_b32 v6, v4 offset:1024
	s_waitcnt lgkmcnt(2)
	v_cmp_le_i32_sdwa s[4:5], v3, v5 src0_sel:WORD_0 src1_sel:DWORD
	v_cmp_le_i32_sdwa s[6:7], sext(v3), v1 src0_sel:WORD_1 src1_sel:DWORD
	s_waitcnt lgkmcnt(0)
	v_cmp_lt_i32_e32 vcc, v6, v22
	v_mov_b32_e32 v23, v22
	v_cndmask_b32_e64 v8, 0, 1, s[6:7]
	v_cndmask_b32_e64 v0, 0, 1, vcc
	s_or_b64 vcc, s[6:7], s[4:5]
	v_cndmask_b32_e32 v0, v0, v8, vcc
	v_and_b32_e32 v0, 1, v0
	v_cmp_eq_u32_e64 s[2:3], 1, v0
	s_xor_b64 s[10:11], s[2:3], -1
	s_and_saveexec_b64 s[2:3], s[10:11]
; %bb.255:
	ds_read_b32 v23, v7 offset:1028
	v_add_u32_e32 v1, 1, v1
; %bb.256:
	s_or_b64 exec, exec, s[2:3]
	s_xor_b64 s[6:7], s[6:7], -1
	v_cmp_lt_i32_e64 s[2:3], v22, v6
	v_add_u32_e32 v0, v5, v26
	s_nop 0
	v_cndmask_b32_e64 v5, 0, 1, s[2:3]
	s_and_b64 s[2:3], s[4:5], s[6:7]
	v_cndmask_b32_e64 v7, 0, 1, s[2:3]
	v_cndmask_b32_e32 v5, v5, v7, vcc
	v_and_b32_e32 v5, 1, v5
	v_cmp_eq_u32_e32 vcc, 1, v5
	s_xor_b64 s[4:5], vcc, -1
	s_and_saveexec_b64 s[2:3], s[4:5]
; %bb.257:
	ds_read_b32 v6, v4 offset:1028
	v_add_u32_e32 v0, 1, v0
; %bb.258:
	s_or_b64 exec, exec, s[2:3]
	v_add_u32_sdwa v7, v3, v26 dst_sel:DWORD dst_unused:UNUSED_PAD src0_sel:WORD_0 src1_sel:DWORD
	v_cmp_ge_i32_e64 s[2:3], v0, v7
	v_cmp_ge_i32_sdwa s[6:7], v1, sext(v3) src0_sel:DWORD src1_sel:WORD_1
	s_waitcnt lgkmcnt(0)
	v_cmp_lt_i32_e64 s[4:5], v6, v23
	v_mov_b32_e32 v24, v23
	v_cndmask_b32_e64 v4, 0, 1, s[6:7]
	v_cndmask_b32_e64 v5, 0, 1, s[4:5]
	s_or_b64 s[4:5], s[6:7], s[2:3]
	v_cndmask_b32_e64 v4, v5, v4, s[4:5]
	v_and_b32_e32 v4, 1, v4
	v_cmp_eq_u32_e64 s[4:5], 1, v4
	s_xor_b64 s[10:11], s[4:5], -1
	v_mov_b32_e32 v4, v1
	s_and_saveexec_b64 s[4:5], s[10:11]
; %bb.259:
	v_lshlrev_b32_e32 v4, 2, v1
	ds_read_b32 v24, v4 offset:1028
	v_add_u32_e32 v4, 1, v1
; %bb.260:
	s_or_b64 exec, exec, s[4:5]
	v_cmp_lt_i32_e64 s[4:5], v23, v6
	s_or_b64 s[2:3], s[2:3], s[4:5]
	s_xor_b64 s[4:5], s[6:7], -1
	s_and_b64 s[6:7], s[4:5], s[2:3]
	s_xor_b64 s[4:5], s[6:7], -1
	v_mov_b32_e32 v5, v0
	s_and_saveexec_b64 s[2:3], s[4:5]
; %bb.261:
	v_lshlrev_b32_e32 v5, 2, v0
	ds_read_b32 v6, v5 offset:1028
	v_add_u32_e32 v5, 1, v0
; %bb.262:
	s_or_b64 exec, exec, s[2:3]
	v_cmp_ge_i32_e64 s[2:3], v5, v7
	v_cmp_ge_i32_sdwa s[10:11], v4, sext(v3) src0_sel:DWORD src1_sel:WORD_1
	s_waitcnt lgkmcnt(0)
	v_cmp_lt_i32_e64 s[4:5], v6, v24
	v_mov_b32_e32 v25, v24
	v_cndmask_b32_e64 v8, 0, 1, s[10:11]
	v_cndmask_b32_e64 v9, 0, 1, s[4:5]
	s_or_b64 s[4:5], s[10:11], s[2:3]
	v_cndmask_b32_e64 v8, v9, v8, s[4:5]
	v_and_b32_e32 v8, 1, v8
	v_cmp_eq_u32_e64 s[4:5], 1, v8
	s_xor_b64 s[16:17], s[4:5], -1
	v_mov_b32_e32 v8, v4
	s_and_saveexec_b64 s[4:5], s[16:17]
; %bb.263:
	v_lshlrev_b32_e32 v8, 2, v4
	ds_read_b32 v25, v8 offset:1028
	v_add_u32_e32 v8, 1, v4
; %bb.264:
	s_or_b64 exec, exec, s[4:5]
	v_cmp_lt_i32_e64 s[4:5], v24, v6
	s_or_b64 s[2:3], s[2:3], s[4:5]
	s_xor_b64 s[4:5], s[10:11], -1
	s_and_b64 s[20:21], s[4:5], s[2:3]
	s_xor_b64 s[4:5], s[20:21], -1
	v_mov_b32_e32 v9, v5
	s_and_saveexec_b64 s[2:3], s[4:5]
; %bb.265:
	v_lshlrev_b32_e32 v6, 2, v5
	ds_read_b32 v6, v6 offset:1028
	v_add_u32_e32 v9, 1, v5
; %bb.266:
	s_or_b64 exec, exec, s[2:3]
	;; [unrolled: 33-line block ×13, first 2 shown]
	v_cmp_ge_i32_e64 s[2:3], v50, v7
	v_cmp_ge_i32_sdwa s[40:41], v49, sext(v3) src0_sel:DWORD src1_sel:WORD_1
	s_waitcnt lgkmcnt(0)
	v_cmp_lt_i32_e64 s[4:5], v6, v37
	v_cndmask_b32_e64 v38, 0, 1, s[40:41]
	s_nop 0
	v_cndmask_b32_e64 v51, 0, 1, s[4:5]
	s_or_b64 s[4:5], s[40:41], s[2:3]
	v_cndmask_b32_e64 v38, v51, v38, s[4:5]
	v_and_b32_e32 v38, 1, v38
	v_cmp_eq_u32_e64 s[4:5], 1, v38
	s_xor_b64 s[42:43], s[4:5], -1
	v_mov_b32_e32 v38, v37
	v_mov_b32_e32 v51, v49
	s_and_saveexec_b64 s[4:5], s[42:43]
; %bb.311:
	v_lshlrev_b32_e32 v38, 2, v49
	ds_read_b32 v38, v38 offset:1028
	v_add_u32_e32 v51, 1, v49
; %bb.312:
	s_or_b64 exec, exec, s[4:5]
	v_cmp_lt_i32_e64 s[4:5], v37, v6
	s_or_b64 s[2:3], s[2:3], s[4:5]
	s_xor_b64 s[4:5], s[40:41], -1
	s_and_b64 s[40:41], s[4:5], s[2:3]
	s_xor_b64 s[4:5], s[40:41], -1
	v_mov_b32_e32 v52, v50
	s_and_saveexec_b64 s[2:3], s[4:5]
; %bb.313:
	v_lshlrev_b32_e32 v6, 2, v50
	ds_read_b32 v6, v6 offset:1028
	v_add_u32_e32 v52, 1, v50
; %bb.314:
	s_or_b64 exec, exec, s[2:3]
	v_cmp_lt_i32_sdwa s[42:43], v51, sext(v3) src0_sel:DWORD src1_sel:WORD_1
	v_cmp_ge_i32_e64 s[2:3], v52, v7
	s_waitcnt lgkmcnt(0)
	v_cmp_lt_i32_e64 s[4:5], v38, v6
	v_add_u32_e32 v6, v52, v51
	v_add_u32_sdwa v3, v7, sext(v3) dst_sel:DWORD dst_unused:UNUSED_PAD src0_sel:DWORD src1_sel:WORD_1
	s_or_b64 s[4:5], s[2:3], s[4:5]
	v_cmp_lt_i32_e64 s[2:3], v6, v3
	s_and_b64 s[2:3], s[42:43], s[2:3]
	v_mov_b32_e32 v6, 0x8000
	s_and_b64 s[2:3], s[2:3], s[4:5]
	v_add_u32_e32 v7, v50, v49
	v_cndmask_b32_e64 v6, 0, v6, s[2:3]
	v_cmp_lt_i32_e64 s[2:3], v7, v3
	v_mov_b32_e32 v7, 0x4000
	s_and_b64 s[2:3], s[2:3], s[40:41]
	v_add_u32_e32 v47, v48, v47
	v_cndmask_b32_e64 v7, 0, v7, s[2:3]
	v_cmp_lt_i32_e64 s[2:3], v47, v3
	;; [unrolled: 5-line block ×9, first 2 shown]
	s_and_b64 s[2:3], s[2:3], s[22:23]
	v_add_u32_e32 v12, v13, v12
	v_cndmask_b32_e64 v14, 0, 64, s[2:3]
	v_cmp_lt_i32_e64 s[2:3], v12, v3
	v_add_u32_e32 v10, v11, v10
	s_and_b64 s[10:11], s[2:3], s[10:11]
	v_cmp_lt_i32_e64 s[2:3], v10, v3
	v_add_u32_e32 v8, v9, v8
	s_and_b64 s[16:17], s[2:3], s[16:17]
	;; [unrolled: 3-line block ×5, first 2 shown]
	v_cmp_lt_i32_e64 s[2:3], v1, v3
	s_and_b64 s[24:25], s[2:3], vcc
	v_cndmask_b32_e64 v4, 0, 4, s[20:21]
	v_cndmask_b32_e64 v0, 0, 2, s[22:23]
	;; [unrolled: 1-line block ×5, first 2 shown]
	v_or3_b32 v0, v0, v1, v4
	v_cndmask_b32_e64 v12, 0, 32, s[10:11]
	v_or3_b32 v0, v0, v8, v10
	v_or3_b32 v43, v0, v12, v14
	v_or_b32_e32 v42, v18, v43
	v_or3_b32 v41, v20, v39, v42
	v_or3_b32 v40, v46, v44, v41
	;; [unrolled: 1-line block ×4, first 2 shown]
	v_bcnt_u32_b32 v8, v26, 0
	v_mov_b32_e32 v9, 0
	s_cmp_lg_u32 s14, 0
	v_mbcnt_lo_u32_b32 v44, -1, 0
	s_barrier
	s_cbranch_scc0 .LBB25_342
; %bb.315:
	v_mbcnt_hi_u32_b32 v20, -1, v44
	v_mov_b32_dpp v0, v8 row_shr:1 row_mask:0xf bank_mask:0xf
	v_mov_b32_e32 v1, v9
	v_and_b32_e32 v4, 15, v20
	v_mov_b32_dpp v3, v9 row_shr:1 row_mask:0xf bank_mask:0xf
	v_mov_b32_e32 v2, v9
	v_lshl_add_u64 v[0:1], v[0:1], 0, v[8:9]
	v_lshl_add_u64 v[2:3], v[2:3], 0, v[0:1]
	v_cmp_eq_u32_e32 vcc, 0, v4
	v_and_b32_e32 v7, 16, v20
	v_cmp_eq_u32_e64 s[2:3], 0, v20
	v_cndmask_b32_e64 v1, v3, 0, vcc
	v_cndmask_b32_e32 v5, v0, v8, vcc
	v_cndmask_b32_e32 v0, v2, v8, vcc
	v_mov_b32_dpp v3, v1 row_shr:2 row_mask:0xf bank_mask:0xf
	v_mov_b32_dpp v2, v5 row_shr:2 row_mask:0xf bank_mask:0xf
	v_lshl_add_u64 v[2:3], v[2:3], 0, v[0:1]
	v_cmp_lt_u32_e32 vcc, 1, v4
	v_cmp_ne_u32_e64 s[4:5], 0, v20
	s_nop 0
	v_cndmask_b32_e32 v1, v1, v3, vcc
	v_cndmask_b32_e32 v5, v5, v2, vcc
	;; [unrolled: 1-line block ×3, first 2 shown]
	v_mov_b32_dpp v3, v1 row_shr:4 row_mask:0xf bank_mask:0xf
	v_mov_b32_dpp v2, v5 row_shr:4 row_mask:0xf bank_mask:0xf
	v_lshl_add_u64 v[2:3], v[2:3], 0, v[0:1]
	v_cmp_lt_u32_e32 vcc, 3, v4
	s_nop 1
	v_cndmask_b32_e32 v1, v1, v3, vcc
	v_cndmask_b32_e32 v5, v5, v2, vcc
	;; [unrolled: 1-line block ×3, first 2 shown]
	v_mov_b32_dpp v3, v1 row_shr:8 row_mask:0xf bank_mask:0xf
	v_mov_b32_dpp v2, v5 row_shr:8 row_mask:0xf bank_mask:0xf
	v_lshl_add_u64 v[2:3], v[2:3], 0, v[0:1]
	v_cmp_lt_u32_e32 vcc, 7, v4
	s_nop 1
	v_cndmask_b32_e32 v3, v1, v3, vcc
	v_cndmask_b32_e32 v6, v5, v2, vcc
	;; [unrolled: 1-line block ×3, first 2 shown]
	v_mov_b32_dpp v1, v3 row_bcast:15 row_mask:0xf bank_mask:0xf
	v_mov_b32_dpp v0, v6 row_bcast:15 row_mask:0xf bank_mask:0xf
	v_lshl_add_u64 v[4:5], v[0:1], 0, v[2:3]
	v_cmp_eq_u32_e32 vcc, 0, v7
	s_nop 1
	v_cndmask_b32_e32 v0, v5, v3, vcc
	v_cndmask_b32_e32 v1, v4, v6, vcc
	s_nop 0
	v_mov_b32_dpp v7, v0 row_bcast:31 row_mask:0xf bank_mask:0xf
	v_mov_b32_dpp v6, v1 row_bcast:31 row_mask:0xf bank_mask:0xf
	v_mov_b64_e32 v[0:1], v[8:9]
	s_and_saveexec_b64 s[6:7], s[4:5]
; %bb.316:
	v_cndmask_b32_e32 v1, v5, v3, vcc
	v_cndmask_b32_e32 v0, v4, v2, vcc
	v_cmp_lt_u32_e32 vcc, 31, v20
	s_nop 1
	v_cndmask_b32_e32 v3, 0, v7, vcc
	v_cndmask_b32_e32 v2, 0, v6, vcc
	v_lshl_add_u64 v[0:1], v[2:3], 0, v[0:1]
; %bb.317:
	s_or_b64 exec, exec, s[6:7]
	v_and_b32_e32 v3, 0x3c0, v16
	v_min_u32_e32 v3, 0xc0, v3
	v_or_b32_e32 v3, 63, v3
	v_lshrrev_b32_e32 v2, 6, v16
	v_cmp_eq_u32_e32 vcc, v16, v3
	s_and_saveexec_b64 s[4:5], vcc
; %bb.318:
	v_lshlrev_b32_e32 v3, 3, v2
	ds_write_b64 v3, v[0:1]
; %bb.319:
	s_or_b64 exec, exec, s[4:5]
	v_cmp_gt_u32_e32 vcc, 4, v16
	s_waitcnt lgkmcnt(0)
	s_barrier
	s_and_saveexec_b64 s[6:7], vcc
	s_cbranch_execz .LBB25_321
; %bb.320:
	v_lshlrev_b32_e32 v3, 3, v16
	ds_read_b64 v[4:5], v3
	v_mov_b32_e32 v6, 0
	v_mov_b32_e32 v11, v6
	v_and_b32_e32 v12, 3, v20
	v_cmp_eq_u32_e32 vcc, 0, v12
	s_waitcnt lgkmcnt(0)
	v_mov_b32_dpp v10, v4 row_shr:1 row_mask:0xf bank_mask:0xf
	v_mov_b32_dpp v7, v5 row_shr:1 row_mask:0xf bank_mask:0xf
	v_lshl_add_u64 v[10:11], v[4:5], 0, v[10:11]
	v_lshl_add_u64 v[6:7], v[6:7], 0, v[10:11]
	v_cndmask_b32_e32 v11, v7, v5, vcc
	v_cndmask_b32_e32 v10, v10, v4, vcc
	v_cmp_ne_u32_e64 s[4:5], 1, v12
	v_mov_b32_dpp v11, v11 row_shr:2 row_mask:0xf bank_mask:0xf
	v_mov_b32_dpp v10, v10 row_shr:2 row_mask:0xf bank_mask:0xf
	v_cndmask_b32_e64 v10, 0, v10, s[4:5]
	v_cndmask_b32_e64 v11, 0, v11, s[4:5]
	v_lshl_add_u64 v[6:7], v[10:11], 0, v[6:7]
	v_cndmask_b32_e32 v5, v7, v5, vcc
	v_cndmask_b32_e32 v4, v6, v4, vcc
	ds_write_b64 v3, v[4:5]
.LBB25_321:
	s_or_b64 exec, exec, s[6:7]
	v_cmp_gt_u32_e32 vcc, 64, v16
	v_cmp_lt_u32_e64 s[4:5], 63, v16
	s_waitcnt lgkmcnt(0)
	s_barrier
                                        ; implicit-def: $vgpr10_vgpr11
	s_and_saveexec_b64 s[6:7], s[4:5]
	s_cbranch_execz .LBB25_323
; %bb.322:
	v_lshl_add_u32 v2, v2, 3, -8
	ds_read_b64 v[10:11], v2
	s_waitcnt lgkmcnt(0)
	v_lshl_add_u64 v[0:1], v[10:11], 0, v[0:1]
.LBB25_323:
	s_or_b64 exec, exec, s[6:7]
	v_add_u32_e32 v1, -1, v20
	v_and_b32_e32 v2, 64, v20
	v_cmp_lt_i32_e64 s[4:5], v1, v2
	s_nop 1
	v_cndmask_b32_e64 v1, v1, v20, s[4:5]
	v_lshlrev_b32_e32 v1, 2, v1
	ds_bpermute_b32 v45, v1, v0
	s_and_saveexec_b64 s[26:27], vcc
	s_cbranch_execz .LBB25_347
; %bb.324:
	v_mov_b32_e32 v3, 0
	ds_read_b64 v[0:1], v3 offset:24
	s_and_saveexec_b64 s[4:5], s[2:3]
	s_cbranch_execz .LBB25_326
; %bb.325:
	s_add_i32 s6, s14, 64
	s_mov_b32 s7, 0
	s_lshl_b64 s[6:7], s[6:7], 4
	s_add_u32 s6, s12, s6
	s_addc_u32 s7, s13, s7
	v_mov_b32_e32 v2, 1
	v_mov_b64_e32 v[4:5], s[6:7]
	s_waitcnt lgkmcnt(0)
	;;#ASMSTART
	global_store_dwordx4 v[4:5], v[0:3] off sc1	
s_waitcnt vmcnt(0)
	;;#ASMEND
.LBB25_326:
	s_or_b64 exec, exec, s[4:5]
	v_xad_u32 v12, v20, -1, s14
	v_add_u32_e32 v2, 64, v12
	v_lshl_add_u64 v[14:15], v[2:3], 4, s[12:13]
	;;#ASMSTART
	global_load_dwordx4 v[4:7], v[14:15] off sc1	
s_waitcnt vmcnt(0)
	;;#ASMEND
	s_nop 0
	v_cmp_eq_u16_sdwa s[6:7], v6, v3 src0_sel:BYTE_0 src1_sel:DWORD
	s_and_saveexec_b64 s[4:5], s[6:7]
	s_cbranch_execz .LBB25_330
; %bb.327:
	s_mov_b64 s[6:7], 0
	v_mov_b32_e32 v2, 0
.LBB25_328:                             ; =>This Inner Loop Header: Depth=1
	;;#ASMSTART
	global_load_dwordx4 v[4:7], v[14:15] off sc1	
s_waitcnt vmcnt(0)
	;;#ASMEND
	s_nop 0
	v_cmp_ne_u16_sdwa s[28:29], v6, v2 src0_sel:BYTE_0 src1_sel:DWORD
	s_or_b64 s[6:7], s[28:29], s[6:7]
	s_andn2_b64 exec, exec, s[6:7]
	s_cbranch_execnz .LBB25_328
; %bb.329:
	s_or_b64 exec, exec, s[6:7]
.LBB25_330:
	s_or_b64 exec, exec, s[4:5]
	v_mov_b32_e32 v46, 2
	v_cmp_eq_u16_sdwa s[4:5], v6, v46 src0_sel:BYTE_0 src1_sel:DWORD
	v_lshlrev_b64 v[14:15], v20, -1
	v_and_b32_e32 v47, 63, v20
	v_and_b32_e32 v2, s5, v15
	v_or_b32_e32 v2, 0x80000000, v2
	v_and_b32_e32 v3, s4, v14
	v_ffbl_b32_e32 v2, v2
	v_add_u32_e32 v2, 32, v2
	v_ffbl_b32_e32 v3, v3
	v_cmp_ne_u32_e32 vcc, 63, v47
	v_min_u32_e32 v7, v3, v2
	v_mov_b32_e32 v13, 0
	v_addc_co_u32_e32 v2, vcc, 0, v20, vcc
	v_lshlrev_b32_e32 v48, 2, v2
	ds_bpermute_b32 v2, v48, v4
	ds_bpermute_b32 v19, v48, v5
	v_mov_b32_e32 v3, v13
	v_mov_b32_e32 v18, v13
	v_cmp_lt_u32_e64 s[4:5], v47, v7
	s_waitcnt lgkmcnt(1)
	v_lshl_add_u64 v[2:3], v[4:5], 0, v[2:3]
	v_cmp_gt_u32_e32 vcc, 62, v47
	s_waitcnt lgkmcnt(0)
	v_lshl_add_u64 v[18:19], v[18:19], 0, v[2:3]
	v_cndmask_b32_e64 v21, v4, v2, s[4:5]
	v_cndmask_b32_e64 v2, 0, 2, vcc
	v_cndmask_b32_e64 v3, v5, v19, s[4:5]
	v_add_lshl_u32 v49, v2, v20, 2
	ds_bpermute_b32 v52, v49, v21
	ds_bpermute_b32 v53, v49, v3
	v_cndmask_b32_e64 v2, v4, v18, s[4:5]
	v_add_u32_e32 v50, 2, v47
	v_cmp_gt_u32_e32 vcc, v50, v7
	v_cmp_gt_u32_e64 s[6:7], 60, v47
	s_waitcnt lgkmcnt(0)
	v_lshl_add_u64 v[18:19], v[52:53], 0, v[2:3]
	v_cndmask_b32_e32 v3, v19, v3, vcc
	v_cndmask_b32_e64 v19, 0, 4, s[6:7]
	v_cndmask_b32_e32 v21, v18, v21, vcc
	v_add_lshl_u32 v51, v19, v20, 2
	ds_bpermute_b32 v54, v51, v21
	ds_bpermute_b32 v55, v51, v3
	v_cndmask_b32_e32 v2, v18, v2, vcc
	v_add_u32_e32 v52, 4, v47
	v_cmp_gt_u32_e32 vcc, v52, v7
	v_cmp_gt_u32_e64 s[6:7], 56, v47
	s_waitcnt lgkmcnt(0)
	v_lshl_add_u64 v[18:19], v[54:55], 0, v[2:3]
	v_cndmask_b32_e32 v3, v19, v3, vcc
	v_cndmask_b32_e64 v19, 0, 8, s[6:7]
	v_cndmask_b32_e32 v21, v18, v21, vcc
	v_add_lshl_u32 v53, v19, v20, 2
	ds_bpermute_b32 v56, v53, v21
	ds_bpermute_b32 v57, v53, v3
	v_cndmask_b32_e32 v2, v18, v2, vcc
	;; [unrolled: 12-line block ×3, first 2 shown]
	v_add_u32_e32 v56, 16, v47
	v_cmp_gt_u32_e32 vcc, v56, v7
	v_mov_b32_e32 v57, 0x80
	s_waitcnt lgkmcnt(0)
	v_lshl_add_u64 v[18:19], v[58:59], 0, v[2:3]
	v_cndmask_b32_e32 v58, v19, v3, vcc
	v_cndmask_b32_e32 v21, v18, v21, vcc
	v_lshl_or_b32 v57, v20, 2, v57
	ds_bpermute_b32 v20, v57, v21
	ds_bpermute_b32 v21, v57, v58
	v_add_u32_e32 v58, 32, v47
	s_and_saveexec_b64 s[6:7], s[4:5]
	s_cbranch_execz .LBB25_332
; %bb.331:
	v_cndmask_b32_e32 v3, v19, v3, vcc
	v_cndmask_b32_e32 v2, v18, v2, vcc
	v_cmp_le_u32_e32 vcc, v58, v7
	s_waitcnt lgkmcnt(0)
	s_nop 0
	v_cndmask_b32_e32 v5, 0, v21, vcc
	v_cndmask_b32_e32 v4, 0, v20, vcc
	v_lshl_add_u64 v[4:5], v[4:5], 0, v[2:3]
.LBB25_332:
	s_or_b64 exec, exec, s[6:7]
	s_branch .LBB25_335
.LBB25_333:                             ;   in Loop: Header=BB25_335 Depth=1
	s_or_b64 exec, exec, s[6:7]
	v_subrev_u32_e32 v12, 64, v12
	v_lshl_add_u64 v[4:5], v[4:5], 0, v[2:3]
	s_mov_b64 s[4:5], 0
.LBB25_334:                             ;   in Loop: Header=BB25_335 Depth=1
	s_and_b64 vcc, exec, s[4:5]
	s_cbranch_vccnz .LBB25_343
.LBB25_335:                             ; =>This Loop Header: Depth=1
                                        ;     Child Loop BB25_338 Depth 2
	v_cmp_ne_u16_sdwa s[4:5], v6, v46 src0_sel:BYTE_0 src1_sel:DWORD
	v_mov_b64_e32 v[2:3], v[4:5]
	s_cmp_lg_u64 s[4:5], exec
	s_mov_b64 s[4:5], -1
                                        ; implicit-def: $vgpr4_vgpr5
	s_cbranch_scc1 .LBB25_334
; %bb.336:                              ;   in Loop: Header=BB25_335 Depth=1
	v_lshl_add_u64 v[18:19], v[12:13], 4, s[12:13]
	;;#ASMSTART
	global_load_dwordx4 v[4:7], v[18:19] off sc1	
s_waitcnt vmcnt(0)
	;;#ASMEND
	s_nop 0
	v_cmp_eq_u16_sdwa s[6:7], v6, v13 src0_sel:BYTE_0 src1_sel:DWORD
	s_and_saveexec_b64 s[4:5], s[6:7]
	s_cbranch_execz .LBB25_340
; %bb.337:                              ;   in Loop: Header=BB25_335 Depth=1
	s_mov_b64 s[6:7], 0
.LBB25_338:                             ;   Parent Loop BB25_335 Depth=1
                                        ; =>  This Inner Loop Header: Depth=2
	;;#ASMSTART
	global_load_dwordx4 v[4:7], v[18:19] off sc1	
s_waitcnt vmcnt(0)
	;;#ASMEND
	s_nop 0
	v_cmp_ne_u16_sdwa s[28:29], v6, v13 src0_sel:BYTE_0 src1_sel:DWORD
	s_or_b64 s[6:7], s[28:29], s[6:7]
	s_andn2_b64 exec, exec, s[6:7]
	s_cbranch_execnz .LBB25_338
; %bb.339:                              ;   in Loop: Header=BB25_335 Depth=1
	s_or_b64 exec, exec, s[6:7]
.LBB25_340:                             ;   in Loop: Header=BB25_335 Depth=1
	s_or_b64 exec, exec, s[4:5]
	v_cmp_eq_u16_sdwa s[4:5], v6, v46 src0_sel:BYTE_0 src1_sel:DWORD
	s_waitcnt lgkmcnt(0)
	ds_bpermute_b32 v21, v48, v5
	v_mov_b32_e32 v20, v13
	v_and_b32_e32 v18, s4, v14
	v_and_b32_e32 v7, s5, v15
	v_ffbl_b32_e32 v19, v18
	ds_bpermute_b32 v18, v48, v4
	v_or_b32_e32 v7, 0x80000000, v7
	v_ffbl_b32_e32 v7, v7
	v_add_u32_e32 v7, 32, v7
	v_min_u32_e32 v7, v19, v7
	v_mov_b32_e32 v19, v13
	s_waitcnt lgkmcnt(0)
	v_lshl_add_u64 v[18:19], v[4:5], 0, v[18:19]
	v_lshl_add_u64 v[20:21], v[20:21], 0, v[18:19]
	v_cmp_lt_u32_e64 s[4:5], v47, v7
	v_cmp_gt_u32_e32 vcc, v50, v7
	s_nop 0
	v_cndmask_b32_e64 v59, v4, v18, s[4:5]
	v_cndmask_b32_e64 v19, v5, v21, s[4:5]
	ds_bpermute_b32 v60, v49, v59
	ds_bpermute_b32 v61, v49, v19
	v_cndmask_b32_e64 v18, v4, v20, s[4:5]
	s_waitcnt lgkmcnt(0)
	v_lshl_add_u64 v[20:21], v[60:61], 0, v[18:19]
	v_cndmask_b32_e32 v59, v20, v59, vcc
	v_cndmask_b32_e32 v19, v21, v19, vcc
	ds_bpermute_b32 v60, v51, v59
	ds_bpermute_b32 v61, v51, v19
	v_cndmask_b32_e32 v18, v20, v18, vcc
	v_cmp_gt_u32_e32 vcc, v52, v7
	s_waitcnt lgkmcnt(0)
	v_lshl_add_u64 v[20:21], v[60:61], 0, v[18:19]
	v_cndmask_b32_e32 v59, v20, v59, vcc
	v_cndmask_b32_e32 v19, v21, v19, vcc
	ds_bpermute_b32 v60, v53, v59
	ds_bpermute_b32 v61, v53, v19
	v_cndmask_b32_e32 v18, v20, v18, vcc
	v_cmp_gt_u32_e32 vcc, v54, v7
	;; [unrolled: 8-line block ×3, first 2 shown]
	s_waitcnt lgkmcnt(0)
	v_lshl_add_u64 v[20:21], v[60:61], 0, v[18:19]
	v_cndmask_b32_e32 v60, v21, v19, vcc
	v_cndmask_b32_e32 v59, v20, v59, vcc
	ds_bpermute_b32 v59, v57, v59
	ds_bpermute_b32 v60, v57, v60
	s_and_saveexec_b64 s[6:7], s[4:5]
	s_cbranch_execz .LBB25_333
; %bb.341:                              ;   in Loop: Header=BB25_335 Depth=1
	v_cndmask_b32_e32 v5, v21, v19, vcc
	v_cndmask_b32_e32 v4, v20, v18, vcc
	v_cmp_le_u32_e32 vcc, v58, v7
	s_waitcnt lgkmcnt(0)
	s_nop 0
	v_cndmask_b32_e32 v19, 0, v60, vcc
	v_cndmask_b32_e32 v18, 0, v59, vcc
	v_lshl_add_u64 v[4:5], v[18:19], 0, v[4:5]
	s_branch .LBB25_333
.LBB25_342:
                                        ; implicit-def: $vgpr2_vgpr3
                                        ; implicit-def: $vgpr4_vgpr5
	s_cbranch_execnz .LBB25_348
	s_branch .LBB25_359
.LBB25_343:
	s_and_saveexec_b64 s[4:5], s[2:3]
	s_cbranch_execz .LBB25_345
; %bb.344:
	s_add_i32 s6, s14, 64
	s_mov_b32 s7, 0
	s_lshl_b64 s[6:7], s[6:7], 4
	s_add_u32 s6, s12, s6
	s_addc_u32 s7, s13, s7
	v_lshl_add_u64 v[4:5], v[2:3], 0, v[0:1]
	v_mov_b32_e32 v6, 2
	v_mov_b32_e32 v7, 0
	v_mov_b64_e32 v[12:13], s[6:7]
	;;#ASMSTART
	global_store_dwordx4 v[12:13], v[4:7] off sc1	
s_waitcnt vmcnt(0)
	;;#ASMEND
	ds_write_b128 v7, v[0:3] offset:32
.LBB25_345:
	s_or_b64 exec, exec, s[4:5]
	s_and_b64 exec, exec, s[0:1]
; %bb.346:
	v_mov_b32_e32 v0, 0
	ds_write_b64 v0, v[2:3] offset:24
.LBB25_347:
	s_or_b64 exec, exec, s[26:27]
	v_mov_b32_e32 v0, 0
	s_waitcnt lgkmcnt(0)
	s_barrier
	ds_read_b64 v[4:5], v0 offset:24
	s_waitcnt lgkmcnt(0)
	s_barrier
	ds_read_b128 v[0:3], v0 offset:32
	v_cndmask_b32_e64 v6, v45, v10, s[2:3]
	v_cndmask_b32_e64 v7, 0, v11, s[2:3]
	v_cndmask_b32_e64 v7, v7, 0, s[0:1]
	v_cndmask_b32_e64 v6, v6, 0, s[0:1]
	v_lshl_add_u64 v[4:5], v[4:5], 0, v[6:7]
	s_branch .LBB25_359
.LBB25_348:
	s_waitcnt lgkmcnt(0)
	v_mov_b32_e32 v0, 0
	v_mbcnt_hi_u32_b32 v4, -1, v44
	v_mov_b32_dpp v2, v8 row_shr:1 row_mask:0xf bank_mask:0xf
	v_mov_b32_e32 v3, v0
	v_and_b32_e32 v5, 15, v4
	v_mov_b32_dpp v1, v0 row_shr:1 row_mask:0xf bank_mask:0xf
	v_lshl_add_u64 v[2:3], v[2:3], 0, v[8:9]
	v_lshl_add_u64 v[0:1], v[0:1], 0, v[2:3]
	v_cmp_eq_u32_e32 vcc, 0, v5
	v_cmp_ne_u32_e64 s[4:5], 0, v4
	s_nop 0
	v_cndmask_b32_e64 v1, v1, 0, vcc
	v_cndmask_b32_e32 v6, v2, v8, vcc
	v_cndmask_b32_e32 v0, v0, v8, vcc
	v_mov_b32_dpp v3, v1 row_shr:2 row_mask:0xf bank_mask:0xf
	v_mov_b32_dpp v2, v6 row_shr:2 row_mask:0xf bank_mask:0xf
	v_lshl_add_u64 v[2:3], v[2:3], 0, v[0:1]
	v_cmp_lt_u32_e32 vcc, 1, v5
	s_nop 1
	v_cndmask_b32_e32 v1, v1, v3, vcc
	v_cndmask_b32_e32 v6, v6, v2, vcc
	v_cndmask_b32_e32 v0, v0, v2, vcc
	v_mov_b32_dpp v3, v1 row_shr:4 row_mask:0xf bank_mask:0xf
	v_mov_b32_dpp v2, v6 row_shr:4 row_mask:0xf bank_mask:0xf
	v_lshl_add_u64 v[2:3], v[2:3], 0, v[0:1]
	v_cmp_lt_u32_e32 vcc, 3, v5
	s_nop 1
	v_cndmask_b32_e32 v1, v1, v3, vcc
	;; [unrolled: 8-line block ×3, first 2 shown]
	v_cndmask_b32_e32 v5, v6, v2, vcc
	v_cndmask_b32_e32 v0, v0, v2, vcc
	v_mov_b32_dpp v3, v1 row_bcast:15 row_mask:0xf bank_mask:0xf
	v_mov_b32_dpp v2, v5 row_bcast:15 row_mask:0xf bank_mask:0xf
	v_and_b32_e32 v6, 16, v4
	v_lshl_add_u64 v[2:3], v[2:3], 0, v[0:1]
	v_cmp_eq_u32_e64 s[2:3], 0, v6
	v_cmp_eq_u32_e32 vcc, 0, v4
	s_nop 0
	v_cndmask_b32_e64 v6, v3, v1, s[2:3]
	v_cndmask_b32_e64 v5, v2, v5, s[2:3]
	s_nop 0
	v_mov_b32_dpp v6, v6 row_bcast:31 row_mask:0xf bank_mask:0xf
	v_mov_b32_dpp v5, v5 row_bcast:31 row_mask:0xf bank_mask:0xf
	s_and_saveexec_b64 s[6:7], s[4:5]
; %bb.349:
	v_cndmask_b32_e64 v1, v3, v1, s[2:3]
	v_cndmask_b32_e64 v0, v2, v0, s[2:3]
	v_cmp_lt_u32_e64 s[2:3], 31, v4
	s_nop 1
	v_cndmask_b32_e64 v3, 0, v6, s[2:3]
	v_cndmask_b32_e64 v2, 0, v5, s[2:3]
	v_lshl_add_u64 v[8:9], v[2:3], 0, v[0:1]
; %bb.350:
	s_or_b64 exec, exec, s[6:7]
	v_and_b32_e32 v1, 0x3c0, v16
	v_min_u32_e32 v1, 0xc0, v1
	v_or_b32_e32 v1, 63, v1
	v_lshrrev_b32_e32 v0, 6, v16
	v_cmp_eq_u32_e64 s[2:3], v16, v1
	s_and_saveexec_b64 s[4:5], s[2:3]
; %bb.351:
	v_lshlrev_b32_e32 v1, 3, v0
	ds_write_b64 v1, v[8:9]
; %bb.352:
	s_or_b64 exec, exec, s[4:5]
	v_cmp_gt_u32_e64 s[2:3], 4, v16
	s_waitcnt lgkmcnt(0)
	s_barrier
	s_and_saveexec_b64 s[6:7], s[2:3]
	s_cbranch_execz .LBB25_354
; %bb.353:
	v_lshlrev_b32_e32 v1, 3, v16
	ds_read_b64 v[2:3], v1
	v_mov_b32_e32 v6, 0
	v_mov_b32_e32 v11, v6
	v_and_b32_e32 v5, 3, v4
	v_cmp_eq_u32_e64 s[2:3], 0, v5
	s_waitcnt lgkmcnt(0)
	v_mov_b32_dpp v10, v2 row_shr:1 row_mask:0xf bank_mask:0xf
	v_mov_b32_dpp v7, v3 row_shr:1 row_mask:0xf bank_mask:0xf
	v_lshl_add_u64 v[10:11], v[2:3], 0, v[10:11]
	v_lshl_add_u64 v[6:7], v[6:7], 0, v[10:11]
	v_cndmask_b32_e64 v9, v7, v3, s[2:3]
	v_cndmask_b32_e64 v10, v10, v2, s[2:3]
	v_cmp_ne_u32_e64 s[4:5], 1, v5
	v_mov_b32_dpp v9, v9 row_shr:2 row_mask:0xf bank_mask:0xf
	v_mov_b32_dpp v10, v10 row_shr:2 row_mask:0xf bank_mask:0xf
	v_cndmask_b32_e64 v10, 0, v10, s[4:5]
	v_cndmask_b32_e64 v11, 0, v9, s[4:5]
	v_lshl_add_u64 v[6:7], v[10:11], 0, v[6:7]
	v_cndmask_b32_e64 v3, v7, v3, s[2:3]
	v_cndmask_b32_e64 v2, v6, v2, s[2:3]
	ds_write_b64 v1, v[2:3]
.LBB25_354:
	s_or_b64 exec, exec, s[6:7]
	v_cmp_lt_u32_e64 s[2:3], 63, v16
	v_mov_b64_e32 v[2:3], 0
	s_waitcnt lgkmcnt(0)
	s_barrier
	s_and_saveexec_b64 s[4:5], s[2:3]
; %bb.355:
	v_lshl_add_u32 v0, v0, 3, -8
	ds_read_b64 v[2:3], v0
; %bb.356:
	s_or_b64 exec, exec, s[4:5]
	v_add_u32_e32 v1, -1, v4
	s_waitcnt lgkmcnt(0)
	v_and_b32_e32 v3, 64, v4
	v_cmp_lt_i32_e64 s[2:3], v1, v3
	v_add_u32_e32 v0, v2, v8
	v_mov_b32_e32 v3, 0
	v_cndmask_b32_e64 v1, v1, v4, s[2:3]
	v_lshlrev_b32_e32 v1, 2, v1
	ds_bpermute_b32 v4, v1, v0
	ds_read_b64 v[0:1], v3 offset:24
	s_waitcnt lgkmcnt(1)
	v_cndmask_b32_e32 v4, v4, v2, vcc
	s_and_saveexec_b64 s[2:3], s[0:1]
	s_cbranch_execz .LBB25_358
; %bb.357:
	s_add_u32 s0, s12, 0x400
	s_addc_u32 s1, s13, 0
	v_mov_b32_e32 v2, 2
	v_mov_b64_e32 v[6:7], s[0:1]
	s_waitcnt lgkmcnt(0)
	;;#ASMSTART
	global_store_dwordx4 v[6:7], v[0:3] off sc1	
s_waitcnt vmcnt(0)
	;;#ASMEND
.LBB25_358:
	s_or_b64 exec, exec, s[2:3]
	v_mov_b64_e32 v[2:3], 0
.LBB25_359:
	s_waitcnt lgkmcnt(0)
	v_sub_u32_e32 v1, v4, v2
	s_barrier
	s_and_saveexec_b64 s[0:1], s[24:25]
	s_cbranch_execnz .LBB25_397
; %bb.360:
	s_or_b64 exec, exec, s[0:1]
	s_and_saveexec_b64 s[0:1], s[22:23]
	s_cbranch_execnz .LBB25_398
.LBB25_361:
	s_or_b64 exec, exec, s[0:1]
	s_and_saveexec_b64 s[0:1], s[20:21]
	s_cbranch_execnz .LBB25_399
.LBB25_362:
	s_or_b64 exec, exec, s[0:1]
	s_and_saveexec_b64 s[0:1], s[18:19]
	s_cbranch_execnz .LBB25_400
.LBB25_363:
	s_or_b64 exec, exec, s[0:1]
	s_and_saveexec_b64 s[0:1], s[16:17]
	s_cbranch_execnz .LBB25_401
.LBB25_364:
	s_or_b64 exec, exec, s[0:1]
	s_and_saveexec_b64 s[0:1], s[10:11]
.LBB25_365:
	v_lshlrev_b32_e32 v4, 2, v1
	v_add_u32_e32 v1, 1, v1
	ds_write_b32 v4, v28 offset:1024
.LBB25_366:
	s_or_b64 exec, exec, s[0:1]
	v_and_b32_e32 v4, 64, v43
	v_cmp_ne_u32_e32 vcc, 0, v4
	s_and_saveexec_b64 s[0:1], vcc
; %bb.367:
	v_lshlrev_b32_e32 v4, 2, v1
	v_add_u32_e32 v1, 1, v1
	ds_write_b32 v4, v29 offset:1024
; %bb.368:
	s_or_b64 exec, exec, s[0:1]
	v_and_b32_e32 v4, 0x80, v42
	v_cmp_ne_u32_e32 vcc, 0, v4
	s_and_saveexec_b64 s[0:1], vcc
; %bb.369:
	v_lshlrev_b32_e32 v4, 2, v1
	v_add_u32_e32 v1, 1, v1
	ds_write_b32 v4, v30 offset:1024
; %bb.370:
	;; [unrolled: 9-line block ×9, first 2 shown]
	s_or_b64 exec, exec, s[0:1]
	v_and_b32_e32 v4, 0x8000, v26
	v_cmp_ne_u32_e32 vcc, 0, v4
	s_and_saveexec_b64 s[0:1], vcc
; %bb.385:
	v_lshlrev_b32_e32 v1, 2, v1
	ds_write_b32 v1, v38 offset:1024
; %bb.386:
	s_or_b64 exec, exec, s[0:1]
	v_cmp_lt_i32_e32 vcc, v16, v0
	s_waitcnt lgkmcnt(0)
	s_barrier
	s_and_saveexec_b64 s[0:1], vcc
	s_cbranch_execz .LBB25_396
; %bb.387:
	v_xad_u32 v1, v16, -1, v0
	s_movk_i32 s0, 0xff
	v_cmp_lt_u32_e32 vcc, s0, v1
	s_mov_b64 s[2:3], -1
	v_lshlrev_b64 v[2:3], 2, v[2:3]
	s_and_saveexec_b64 s[0:1], vcc
	s_cbranch_execz .LBB25_393
; %bb.388:
	v_lshrrev_b32_e32 v1, 8, v1
	v_add_u32_e32 v10, 1, v1
	v_and_b32_e32 v1, 0x1fffffe, v10
	v_add_u32_e32 v17, 0x100, v16
	v_mov_b32_e32 v6, 0x400
	v_lshl_add_u64 v[4:5], s[8:9], 0, v[2:3]
	v_lshl_add_u32 v11, v16, 2, v6
	s_mov_b64 s[2:3], 0
	v_mov_b32_e32 v7, 0
	v_mov_b32_e32 v12, v1
	v_mov_b64_e32 v[8:9], v[16:17]
.LBB25_389:                             ; =>This Inner Loop Header: Depth=1
	ds_read2st64_b32 v[14:15], v11 offset1:4
	v_add_u32_e32 v12, -2, v12
	v_mov_b32_e32 v6, v8
	v_cmp_eq_u32_e32 vcc, 0, v12
	v_add_u32_e32 v8, 0x200, v8
	v_add_u32_e32 v11, 0x800, v11
	v_lshl_add_u64 v[18:19], v[6:7], 2, v[4:5]
	v_mov_b32_e32 v6, v9
	v_add_u32_e32 v9, 0x200, v9
	s_or_b64 s[2:3], vcc, s[2:3]
	v_lshl_add_u64 v[20:21], v[6:7], 2, v[4:5]
	s_waitcnt lgkmcnt(0)
	global_store_dword v[18:19], v14, off
	global_store_dword v[20:21], v15, off
	s_andn2_b64 exec, exec, s[2:3]
	s_cbranch_execnz .LBB25_389
; %bb.390:
	s_or_b64 exec, exec, s[2:3]
	v_cmp_ne_u32_e32 vcc, v10, v1
	s_mov_b64 s[2:3], 0
	s_and_saveexec_b64 s[4:5], vcc
; %bb.391:
	s_mov_b64 s[2:3], exec
	v_lshl_add_u32 v16, v1, 8, v16
	v_mov_b32_e32 v17, 0
; %bb.392:
	s_or_b64 exec, exec, s[4:5]
	s_orn2_b64 s[2:3], s[2:3], exec
.LBB25_393:
	s_or_b64 exec, exec, s[0:1]
	s_and_b64 exec, exec, s[2:3]
	s_cbranch_execz .LBB25_396
; %bb.394:
	v_mov_b32_e32 v1, 0x400
	v_lshl_add_u64 v[2:3], s[8:9], 0, v[2:3]
	v_lshl_add_u32 v1, v16, 2, v1
	v_lshl_add_u64 v[2:3], v[16:17], 2, v[2:3]
	s_mov_b64 s[0:1], 0
	s_mov_b64 s[2:3], 0x400
.LBB25_395:                             ; =>This Inner Loop Header: Depth=1
	ds_read_b32 v4, v1
	v_add_u32_e32 v16, 0x100, v16
	v_cmp_ge_i32_e32 vcc, v16, v0
	v_add_u32_e32 v1, 0x400, v1
	s_or_b64 s[0:1], vcc, s[0:1]
	s_waitcnt lgkmcnt(0)
	global_store_dword v[2:3], v4, off
	v_lshl_add_u64 v[2:3], v[2:3], 0, s[2:3]
	s_andn2_b64 exec, exec, s[0:1]
	s_cbranch_execnz .LBB25_395
.LBB25_396:
	s_endpgm
.LBB25_397:
	v_lshlrev_b32_e32 v4, 2, v1
	v_add_u32_e32 v1, 1, v1
	ds_write_b32 v4, v22 offset:1024
	s_or_b64 exec, exec, s[0:1]
	s_and_saveexec_b64 s[0:1], s[22:23]
	s_cbranch_execz .LBB25_361
.LBB25_398:
	v_lshlrev_b32_e32 v4, 2, v1
	v_add_u32_e32 v1, 1, v1
	ds_write_b32 v4, v23 offset:1024
	s_or_b64 exec, exec, s[0:1]
	s_and_saveexec_b64 s[0:1], s[20:21]
	s_cbranch_execz .LBB25_362
.LBB25_399:
	v_lshlrev_b32_e32 v4, 2, v1
	v_add_u32_e32 v1, 1, v1
	ds_write_b32 v4, v24 offset:1024
	s_or_b64 exec, exec, s[0:1]
	s_and_saveexec_b64 s[0:1], s[18:19]
	s_cbranch_execz .LBB25_363
.LBB25_400:
	v_lshlrev_b32_e32 v4, 2, v1
	v_add_u32_e32 v1, 1, v1
	ds_write_b32 v4, v25 offset:1024
	s_or_b64 exec, exec, s[0:1]
	s_and_saveexec_b64 s[0:1], s[16:17]
	s_cbranch_execz .LBB25_364
.LBB25_401:
	v_lshlrev_b32_e32 v4, 2, v1
	v_add_u32_e32 v1, 1, v1
	ds_write_b32 v4, v27 offset:1024
	s_or_b64 exec, exec, s[0:1]
	s_and_saveexec_b64 s[0:1], s[10:11]
	s_cbranch_execnz .LBB25_365
	s_branch .LBB25_366
	.section	.rodata,"a",@progbits
	.p2align	6, 0x0
	.amdhsa_kernel _ZN6thrust23THRUST_200600_302600_NS11hip_rocprim16__set_operations22lookback_set_op_kernelIN7rocprim17ROCPRIM_400000_NS13kernel_configILj256ELj16ELj4294967295EEELb0ENS0_6detail15normal_iteratorINS0_10device_ptrIKiEEEESD_PiSE_lNS9_INSA_IiEEEESE_NS0_4lessIiEENS2_21serial_set_differenceENS5_6detail19lookback_scan_stateIlLb0ELb1EEEEEvT1_T2_T3_T4_T6_T7_T8_T9_PNS0_4pairIT5_SW_EEPSW_T10_NSK_16ordered_block_idIjEE
		.amdhsa_group_segment_fixed_size 36868
		.amdhsa_private_segment_fixed_size 0
		.amdhsa_kernarg_size 344
		.amdhsa_user_sgpr_count 2
		.amdhsa_user_sgpr_dispatch_ptr 0
		.amdhsa_user_sgpr_queue_ptr 0
		.amdhsa_user_sgpr_kernarg_segment_ptr 1
		.amdhsa_user_sgpr_dispatch_id 0
		.amdhsa_user_sgpr_kernarg_preload_length 0
		.amdhsa_user_sgpr_kernarg_preload_offset 0
		.amdhsa_user_sgpr_private_segment_size 0
		.amdhsa_uses_dynamic_stack 0
		.amdhsa_enable_private_segment 0
		.amdhsa_system_sgpr_workgroup_id_x 1
		.amdhsa_system_sgpr_workgroup_id_y 0
		.amdhsa_system_sgpr_workgroup_id_z 0
		.amdhsa_system_sgpr_workgroup_info 0
		.amdhsa_system_vgpr_workitem_id 2
		.amdhsa_next_free_vgpr 97
		.amdhsa_next_free_sgpr 96
		.amdhsa_accum_offset 68
		.amdhsa_reserve_vcc 1
		.amdhsa_float_round_mode_32 0
		.amdhsa_float_round_mode_16_64 0
		.amdhsa_float_denorm_mode_32 3
		.amdhsa_float_denorm_mode_16_64 3
		.amdhsa_dx10_clamp 1
		.amdhsa_ieee_mode 1
		.amdhsa_fp16_overflow 0
		.amdhsa_tg_split 0
		.amdhsa_exception_fp_ieee_invalid_op 0
		.amdhsa_exception_fp_denorm_src 0
		.amdhsa_exception_fp_ieee_div_zero 0
		.amdhsa_exception_fp_ieee_overflow 0
		.amdhsa_exception_fp_ieee_underflow 0
		.amdhsa_exception_fp_ieee_inexact 0
		.amdhsa_exception_int_div_zero 0
	.end_amdhsa_kernel
	.section	.text._ZN6thrust23THRUST_200600_302600_NS11hip_rocprim16__set_operations22lookback_set_op_kernelIN7rocprim17ROCPRIM_400000_NS13kernel_configILj256ELj16ELj4294967295EEELb0ENS0_6detail15normal_iteratorINS0_10device_ptrIKiEEEESD_PiSE_lNS9_INSA_IiEEEESE_NS0_4lessIiEENS2_21serial_set_differenceENS5_6detail19lookback_scan_stateIlLb0ELb1EEEEEvT1_T2_T3_T4_T6_T7_T8_T9_PNS0_4pairIT5_SW_EEPSW_T10_NSK_16ordered_block_idIjEE,"axG",@progbits,_ZN6thrust23THRUST_200600_302600_NS11hip_rocprim16__set_operations22lookback_set_op_kernelIN7rocprim17ROCPRIM_400000_NS13kernel_configILj256ELj16ELj4294967295EEELb0ENS0_6detail15normal_iteratorINS0_10device_ptrIKiEEEESD_PiSE_lNS9_INSA_IiEEEESE_NS0_4lessIiEENS2_21serial_set_differenceENS5_6detail19lookback_scan_stateIlLb0ELb1EEEEEvT1_T2_T3_T4_T6_T7_T8_T9_PNS0_4pairIT5_SW_EEPSW_T10_NSK_16ordered_block_idIjEE,comdat
.Lfunc_end25:
	.size	_ZN6thrust23THRUST_200600_302600_NS11hip_rocprim16__set_operations22lookback_set_op_kernelIN7rocprim17ROCPRIM_400000_NS13kernel_configILj256ELj16ELj4294967295EEELb0ENS0_6detail15normal_iteratorINS0_10device_ptrIKiEEEESD_PiSE_lNS9_INSA_IiEEEESE_NS0_4lessIiEENS2_21serial_set_differenceENS5_6detail19lookback_scan_stateIlLb0ELb1EEEEEvT1_T2_T3_T4_T6_T7_T8_T9_PNS0_4pairIT5_SW_EEPSW_T10_NSK_16ordered_block_idIjEE, .Lfunc_end25-_ZN6thrust23THRUST_200600_302600_NS11hip_rocprim16__set_operations22lookback_set_op_kernelIN7rocprim17ROCPRIM_400000_NS13kernel_configILj256ELj16ELj4294967295EEELb0ENS0_6detail15normal_iteratorINS0_10device_ptrIKiEEEESD_PiSE_lNS9_INSA_IiEEEESE_NS0_4lessIiEENS2_21serial_set_differenceENS5_6detail19lookback_scan_stateIlLb0ELb1EEEEEvT1_T2_T3_T4_T6_T7_T8_T9_PNS0_4pairIT5_SW_EEPSW_T10_NSK_16ordered_block_idIjEE
                                        ; -- End function
	.set _ZN6thrust23THRUST_200600_302600_NS11hip_rocprim16__set_operations22lookback_set_op_kernelIN7rocprim17ROCPRIM_400000_NS13kernel_configILj256ELj16ELj4294967295EEELb0ENS0_6detail15normal_iteratorINS0_10device_ptrIKiEEEESD_PiSE_lNS9_INSA_IiEEEESE_NS0_4lessIiEENS2_21serial_set_differenceENS5_6detail19lookback_scan_stateIlLb0ELb1EEEEEvT1_T2_T3_T4_T6_T7_T8_T9_PNS0_4pairIT5_SW_EEPSW_T10_NSK_16ordered_block_idIjEE.num_vgpr, 66
	.set _ZN6thrust23THRUST_200600_302600_NS11hip_rocprim16__set_operations22lookback_set_op_kernelIN7rocprim17ROCPRIM_400000_NS13kernel_configILj256ELj16ELj4294967295EEELb0ENS0_6detail15normal_iteratorINS0_10device_ptrIKiEEEESD_PiSE_lNS9_INSA_IiEEEESE_NS0_4lessIiEENS2_21serial_set_differenceENS5_6detail19lookback_scan_stateIlLb0ELb1EEEEEvT1_T2_T3_T4_T6_T7_T8_T9_PNS0_4pairIT5_SW_EEPSW_T10_NSK_16ordered_block_idIjEE.num_agpr, 0
	.set _ZN6thrust23THRUST_200600_302600_NS11hip_rocprim16__set_operations22lookback_set_op_kernelIN7rocprim17ROCPRIM_400000_NS13kernel_configILj256ELj16ELj4294967295EEELb0ENS0_6detail15normal_iteratorINS0_10device_ptrIKiEEEESD_PiSE_lNS9_INSA_IiEEEESE_NS0_4lessIiEENS2_21serial_set_differenceENS5_6detail19lookback_scan_stateIlLb0ELb1EEEEEvT1_T2_T3_T4_T6_T7_T8_T9_PNS0_4pairIT5_SW_EEPSW_T10_NSK_16ordered_block_idIjEE.numbered_sgpr, 46
	.set _ZN6thrust23THRUST_200600_302600_NS11hip_rocprim16__set_operations22lookback_set_op_kernelIN7rocprim17ROCPRIM_400000_NS13kernel_configILj256ELj16ELj4294967295EEELb0ENS0_6detail15normal_iteratorINS0_10device_ptrIKiEEEESD_PiSE_lNS9_INSA_IiEEEESE_NS0_4lessIiEENS2_21serial_set_differenceENS5_6detail19lookback_scan_stateIlLb0ELb1EEEEEvT1_T2_T3_T4_T6_T7_T8_T9_PNS0_4pairIT5_SW_EEPSW_T10_NSK_16ordered_block_idIjEE.num_named_barrier, 0
	.set _ZN6thrust23THRUST_200600_302600_NS11hip_rocprim16__set_operations22lookback_set_op_kernelIN7rocprim17ROCPRIM_400000_NS13kernel_configILj256ELj16ELj4294967295EEELb0ENS0_6detail15normal_iteratorINS0_10device_ptrIKiEEEESD_PiSE_lNS9_INSA_IiEEEESE_NS0_4lessIiEENS2_21serial_set_differenceENS5_6detail19lookback_scan_stateIlLb0ELb1EEEEEvT1_T2_T3_T4_T6_T7_T8_T9_PNS0_4pairIT5_SW_EEPSW_T10_NSK_16ordered_block_idIjEE.private_seg_size, 0
	.set _ZN6thrust23THRUST_200600_302600_NS11hip_rocprim16__set_operations22lookback_set_op_kernelIN7rocprim17ROCPRIM_400000_NS13kernel_configILj256ELj16ELj4294967295EEELb0ENS0_6detail15normal_iteratorINS0_10device_ptrIKiEEEESD_PiSE_lNS9_INSA_IiEEEESE_NS0_4lessIiEENS2_21serial_set_differenceENS5_6detail19lookback_scan_stateIlLb0ELb1EEEEEvT1_T2_T3_T4_T6_T7_T8_T9_PNS0_4pairIT5_SW_EEPSW_T10_NSK_16ordered_block_idIjEE.uses_vcc, 1
	.set _ZN6thrust23THRUST_200600_302600_NS11hip_rocprim16__set_operations22lookback_set_op_kernelIN7rocprim17ROCPRIM_400000_NS13kernel_configILj256ELj16ELj4294967295EEELb0ENS0_6detail15normal_iteratorINS0_10device_ptrIKiEEEESD_PiSE_lNS9_INSA_IiEEEESE_NS0_4lessIiEENS2_21serial_set_differenceENS5_6detail19lookback_scan_stateIlLb0ELb1EEEEEvT1_T2_T3_T4_T6_T7_T8_T9_PNS0_4pairIT5_SW_EEPSW_T10_NSK_16ordered_block_idIjEE.uses_flat_scratch, 0
	.set _ZN6thrust23THRUST_200600_302600_NS11hip_rocprim16__set_operations22lookback_set_op_kernelIN7rocprim17ROCPRIM_400000_NS13kernel_configILj256ELj16ELj4294967295EEELb0ENS0_6detail15normal_iteratorINS0_10device_ptrIKiEEEESD_PiSE_lNS9_INSA_IiEEEESE_NS0_4lessIiEENS2_21serial_set_differenceENS5_6detail19lookback_scan_stateIlLb0ELb1EEEEEvT1_T2_T3_T4_T6_T7_T8_T9_PNS0_4pairIT5_SW_EEPSW_T10_NSK_16ordered_block_idIjEE.has_dyn_sized_stack, 0
	.set _ZN6thrust23THRUST_200600_302600_NS11hip_rocprim16__set_operations22lookback_set_op_kernelIN7rocprim17ROCPRIM_400000_NS13kernel_configILj256ELj16ELj4294967295EEELb0ENS0_6detail15normal_iteratorINS0_10device_ptrIKiEEEESD_PiSE_lNS9_INSA_IiEEEESE_NS0_4lessIiEENS2_21serial_set_differenceENS5_6detail19lookback_scan_stateIlLb0ELb1EEEEEvT1_T2_T3_T4_T6_T7_T8_T9_PNS0_4pairIT5_SW_EEPSW_T10_NSK_16ordered_block_idIjEE.has_recursion, 0
	.set _ZN6thrust23THRUST_200600_302600_NS11hip_rocprim16__set_operations22lookback_set_op_kernelIN7rocprim17ROCPRIM_400000_NS13kernel_configILj256ELj16ELj4294967295EEELb0ENS0_6detail15normal_iteratorINS0_10device_ptrIKiEEEESD_PiSE_lNS9_INSA_IiEEEESE_NS0_4lessIiEENS2_21serial_set_differenceENS5_6detail19lookback_scan_stateIlLb0ELb1EEEEEvT1_T2_T3_T4_T6_T7_T8_T9_PNS0_4pairIT5_SW_EEPSW_T10_NSK_16ordered_block_idIjEE.has_indirect_call, 0
	.section	.AMDGPU.csdata,"",@progbits
; Kernel info:
; codeLenInByte = 19312
; TotalNumSgprs: 52
; NumVgprs: 66
; NumAgprs: 0
; TotalNumVgprs: 66
; ScratchSize: 0
; MemoryBound: 0
; FloatMode: 240
; IeeeMode: 1
; LDSByteSize: 36868 bytes/workgroup (compile time only)
; SGPRBlocks: 12
; VGPRBlocks: 12
; NumSGPRsForWavesPerEU: 102
; NumVGPRsForWavesPerEU: 97
; AccumOffset: 68
; Occupancy: 4
; WaveLimiterHint : 1
; COMPUTE_PGM_RSRC2:SCRATCH_EN: 0
; COMPUTE_PGM_RSRC2:USER_SGPR: 2
; COMPUTE_PGM_RSRC2:TRAP_HANDLER: 0
; COMPUTE_PGM_RSRC2:TGID_X_EN: 1
; COMPUTE_PGM_RSRC2:TGID_Y_EN: 0
; COMPUTE_PGM_RSRC2:TGID_Z_EN: 0
; COMPUTE_PGM_RSRC2:TIDIG_COMP_CNT: 2
; COMPUTE_PGM_RSRC3_GFX90A:ACCUM_OFFSET: 16
; COMPUTE_PGM_RSRC3_GFX90A:TG_SPLIT: 0
	.section	.text._ZN6thrust23THRUST_200600_302600_NS11hip_rocprim14__parallel_for6kernelILj256EZNS1_16__set_operations9doit_stepILb0ENS0_6detail15normal_iteratorINS0_10device_ptrIKiEEEESB_PiSC_lNS7_INS8_IiEEEESC_NS0_4lessIiEENS4_31serial_set_symmetric_differenceEEE10hipError_tPvRmT0_T1_T2_T3_T4_SP_T5_T6_PSP_T7_T8_P12ihipStream_tbEUllE_jLj1EEEvSL_SM_SM_,"axG",@progbits,_ZN6thrust23THRUST_200600_302600_NS11hip_rocprim14__parallel_for6kernelILj256EZNS1_16__set_operations9doit_stepILb0ENS0_6detail15normal_iteratorINS0_10device_ptrIKiEEEESB_PiSC_lNS7_INS8_IiEEEESC_NS0_4lessIiEENS4_31serial_set_symmetric_differenceEEE10hipError_tPvRmT0_T1_T2_T3_T4_SP_T5_T6_PSP_T7_T8_P12ihipStream_tbEUllE_jLj1EEEvSL_SM_SM_,comdat
	.protected	_ZN6thrust23THRUST_200600_302600_NS11hip_rocprim14__parallel_for6kernelILj256EZNS1_16__set_operations9doit_stepILb0ENS0_6detail15normal_iteratorINS0_10device_ptrIKiEEEESB_PiSC_lNS7_INS8_IiEEEESC_NS0_4lessIiEENS4_31serial_set_symmetric_differenceEEE10hipError_tPvRmT0_T1_T2_T3_T4_SP_T5_T6_PSP_T7_T8_P12ihipStream_tbEUllE_jLj1EEEvSL_SM_SM_ ; -- Begin function _ZN6thrust23THRUST_200600_302600_NS11hip_rocprim14__parallel_for6kernelILj256EZNS1_16__set_operations9doit_stepILb0ENS0_6detail15normal_iteratorINS0_10device_ptrIKiEEEESB_PiSC_lNS7_INS8_IiEEEESC_NS0_4lessIiEENS4_31serial_set_symmetric_differenceEEE10hipError_tPvRmT0_T1_T2_T3_T4_SP_T5_T6_PSP_T7_T8_P12ihipStream_tbEUllE_jLj1EEEvSL_SM_SM_
	.globl	_ZN6thrust23THRUST_200600_302600_NS11hip_rocprim14__parallel_for6kernelILj256EZNS1_16__set_operations9doit_stepILb0ENS0_6detail15normal_iteratorINS0_10device_ptrIKiEEEESB_PiSC_lNS7_INS8_IiEEEESC_NS0_4lessIiEENS4_31serial_set_symmetric_differenceEEE10hipError_tPvRmT0_T1_T2_T3_T4_SP_T5_T6_PSP_T7_T8_P12ihipStream_tbEUllE_jLj1EEEvSL_SM_SM_
	.p2align	8
	.type	_ZN6thrust23THRUST_200600_302600_NS11hip_rocprim14__parallel_for6kernelILj256EZNS1_16__set_operations9doit_stepILb0ENS0_6detail15normal_iteratorINS0_10device_ptrIKiEEEESB_PiSC_lNS7_INS8_IiEEEESC_NS0_4lessIiEENS4_31serial_set_symmetric_differenceEEE10hipError_tPvRmT0_T1_T2_T3_T4_SP_T5_T6_PSP_T7_T8_P12ihipStream_tbEUllE_jLj1EEEvSL_SM_SM_,@function
_ZN6thrust23THRUST_200600_302600_NS11hip_rocprim14__parallel_for6kernelILj256EZNS1_16__set_operations9doit_stepILb0ENS0_6detail15normal_iteratorINS0_10device_ptrIKiEEEESB_PiSC_lNS7_INS8_IiEEEESC_NS0_4lessIiEENS4_31serial_set_symmetric_differenceEEE10hipError_tPvRmT0_T1_T2_T3_T4_SP_T5_T6_PSP_T7_T8_P12ihipStream_tbEUllE_jLj1EEEvSL_SM_SM_: ; @_ZN6thrust23THRUST_200600_302600_NS11hip_rocprim14__parallel_for6kernelILj256EZNS1_16__set_operations9doit_stepILb0ENS0_6detail15normal_iteratorINS0_10device_ptrIKiEEEESB_PiSC_lNS7_INS8_IiEEEESC_NS0_4lessIiEENS4_31serial_set_symmetric_differenceEEE10hipError_tPvRmT0_T1_T2_T3_T4_SP_T5_T6_PSP_T7_T8_P12ihipStream_tbEUllE_jLj1EEEvSL_SM_SM_
; %bb.0:
	s_load_dwordx2 s[14:15], s[0:1], 0x30
	s_load_dwordx2 s[12:13], s[0:1], 0x20
	s_load_dwordx8 s[4:11], s[0:1], 0x0
	s_lshl_b32 s0, s2, 8
	s_waitcnt lgkmcnt(0)
	s_add_i32 s18, s15, s0
	s_sub_i32 s2, s14, s18
	s_cmpk_gt_u32 s2, 0xff
	s_mov_b64 s[0:1], -1
	s_cbranch_scc0 .LBB26_3
; %bb.1:
	s_andn2_b64 vcc, exec, s[0:1]
	s_cbranch_vccz .LBB26_40
.LBB26_2:
	s_endpgm
.LBB26_3:
	v_cmp_gt_u32_e32 vcc, s2, v0
	s_and_saveexec_b64 s[2:3], vcc
	s_cbranch_execz .LBB26_39
; %bb.4:
	v_add_u32_e32 v4, s18, v0
	s_movk_i32 s0, 0xfff
	v_mad_u64_u32 v[2:3], s[0:1], v4, s0, 0
	s_add_u32 s0, s6, s4
	s_addc_u32 s1, s7, s5
	v_mov_b32_e32 v1, s1
	v_cmp_lt_i64_e32 vcc, s[0:1], v[2:3]
	v_mov_b32_e32 v5, 0
	s_nop 0
	v_cndmask_b32_e32 v7, v3, v1, vcc
	v_mov_b32_e32 v1, s0
	v_cndmask_b32_e32 v6, v2, v1, vcc
	v_mov_b32_e32 v1, s7
	v_subrev_co_u32_e32 v2, vcc, s6, v6
	s_mov_b64 s[0:1], 0
	s_nop 0
	v_subb_co_u32_e32 v3, vcc, v7, v1, vcc
	v_cmp_lt_i64_e32 vcc, 0, v[2:3]
	v_mov_b32_e32 v1, s5
	s_nop 0
	v_cndmask_b32_e32 v3, 0, v3, vcc
	v_cndmask_b32_e32 v2, 0, v2, vcc
	v_cmp_lt_i64_e32 vcc, s[4:5], v[6:7]
	s_nop 1
	v_cndmask_b32_e32 v9, v7, v1, vcc
	v_mov_b32_e32 v1, s4
	v_cndmask_b32_e32 v8, v6, v1, vcc
	v_cmp_lt_i64_e32 vcc, v[2:3], v[8:9]
	s_and_saveexec_b64 s[14:15], vcc
	s_cbranch_execz .LBB26_8
; %bb.5:
	v_lshl_add_u64 v[10:11], v[6:7], 2, s[12:13]
.LBB26_6:                               ; =>This Inner Loop Header: Depth=1
	v_lshl_add_u64 v[12:13], v[8:9], 0, v[2:3]
	v_lshrrev_b64 v[12:13], 1, v[12:13]
	v_lshlrev_b64 v[14:15], 2, v[12:13]
	v_lshl_add_u64 v[16:17], s[10:11], 0, v[14:15]
	v_xor_b32_e32 v15, -1, v15
	v_xor_b32_e32 v14, -4, v14
	v_lshl_add_u64 v[14:15], v[10:11], 0, v[14:15]
	global_load_dword v1, v[16:17], off
	s_nop 0
	global_load_dword v16, v[14:15], off
	v_lshl_add_u64 v[14:15], v[12:13], 0, 1
	s_waitcnt vmcnt(0)
	v_cmp_lt_i32_e32 vcc, v16, v1
	s_nop 1
	v_cndmask_b32_e32 v9, v9, v13, vcc
	v_cndmask_b32_e32 v8, v8, v12, vcc
	;; [unrolled: 1-line block ×4, first 2 shown]
	v_cmp_ge_i64_e32 vcc, v[2:3], v[8:9]
	s_or_b64 s[0:1], vcc, s[0:1]
	s_andn2_b64 exec, exec, s[0:1]
	s_cbranch_execnz .LBB26_6
; %bb.7:
	s_or_b64 exec, exec, s[0:1]
.LBB26_8:
	s_or_b64 exec, exec, s[14:15]
	v_sub_co_u32_e32 v12, vcc, v6, v2
	v_mov_b64_e32 v[10:11], 0
	s_nop 0
	v_subb_co_u32_e32 v13, vcc, v7, v3, vcc
	v_cmp_gt_i64_e32 vcc, s[6:7], v[12:13]
	s_and_saveexec_b64 s[14:15], vcc
	s_cbranch_execz .LBB26_38
; %bb.9:
	v_lshl_add_u64 v[10:11], v[12:13], 2, s[12:13]
	global_load_dword v1, v[10:11], off
	v_mov_b64_e32 v[8:9], 0
	v_cmp_lt_i64_e32 vcc, 0, v[2:3]
	v_mov_b64_e32 v[14:15], 0
	s_and_saveexec_b64 s[0:1], vcc
	s_cbranch_execnz .LBB26_14
; %bb.10:
	s_or_b64 exec, exec, s[0:1]
	v_cmp_lt_u64_e32 vcc, v[8:9], v[14:15]
	s_and_saveexec_b64 s[0:1], vcc
	s_cbranch_execnz .LBB26_15
.LBB26_11:
	s_or_b64 exec, exec, s[0:1]
	v_cmp_lt_u64_e32 vcc, v[8:9], v[14:15]
	s_and_saveexec_b64 s[0:1], vcc
	s_cbranch_execnz .LBB26_16
.LBB26_12:
	s_or_b64 exec, exec, s[0:1]
	v_cmp_lt_u64_e32 vcc, v[8:9], v[14:15]
	s_and_saveexec_b64 s[0:1], vcc
	s_cbranch_execnz .LBB26_17
.LBB26_13:
	s_or_b64 exec, exec, s[0:1]
	v_cmp_lt_u64_e32 vcc, v[8:9], v[14:15]
	s_and_saveexec_b64 s[0:1], vcc
	s_cbranch_execnz .LBB26_18
	s_branch .LBB26_21
.LBB26_14:
	s_movk_i32 s19, 0x1ff
	v_mad_u64_u32 v[8:9], s[16:17], v2, s19, 0
	v_mov_b32_e32 v14, v9
	v_mad_u64_u32 v[14:15], s[16:17], v3, s19, v[14:15]
	v_mov_b32_e32 v9, v14
	v_lshrrev_b64 v[14:15], 9, v[8:9]
	v_lshl_add_u64 v[8:9], v[14:15], 2, s[10:11]
	global_load_dword v16, v[8:9], off
	v_lshl_add_u64 v[8:9], v[14:15], 0, 1
	s_waitcnt vmcnt(0)
	v_cmp_lt_i32_e32 vcc, v16, v1
	s_nop 1
	v_cndmask_b32_e32 v9, 0, v9, vcc
	v_cndmask_b32_e32 v8, 0, v8, vcc
	;; [unrolled: 1-line block ×4, first 2 shown]
	s_or_b64 exec, exec, s[0:1]
	v_cmp_lt_u64_e32 vcc, v[8:9], v[14:15]
	s_and_saveexec_b64 s[0:1], vcc
	s_cbranch_execz .LBB26_11
.LBB26_15:
	s_movk_i32 s19, 0x7f
	v_mad_u64_u32 v[16:17], s[16:17], v14, s19, v[8:9]
	v_mov_b32_e32 v18, v17
	v_mad_u64_u32 v[18:19], s[16:17], v15, s19, v[18:19]
	v_mov_b32_e32 v17, v18
	v_lshrrev_b64 v[16:17], 7, v[16:17]
	v_lshl_add_u64 v[18:19], v[16:17], 2, s[10:11]
	global_load_dword v20, v[18:19], off
	v_lshl_add_u64 v[18:19], v[16:17], 0, 1
	s_waitcnt vmcnt(0)
	v_cmp_lt_i32_e32 vcc, v20, v1
	s_nop 1
	v_cndmask_b32_e32 v9, v9, v19, vcc
	v_cndmask_b32_e32 v8, v8, v18, vcc
	;; [unrolled: 1-line block ×4, first 2 shown]
	s_or_b64 exec, exec, s[0:1]
	v_cmp_lt_u64_e32 vcc, v[8:9], v[14:15]
	s_and_saveexec_b64 s[0:1], vcc
	s_cbranch_execz .LBB26_12
.LBB26_16:
	v_mad_u64_u32 v[16:17], s[16:17], v14, 31, v[8:9]
	v_mov_b32_e32 v18, v17
	v_mad_u64_u32 v[18:19], s[16:17], v15, 31, v[18:19]
	v_mov_b32_e32 v17, v18
	v_lshrrev_b64 v[16:17], 5, v[16:17]
	v_lshl_add_u64 v[18:19], v[16:17], 2, s[10:11]
	global_load_dword v20, v[18:19], off
	v_lshl_add_u64 v[18:19], v[16:17], 0, 1
	s_waitcnt vmcnt(0)
	v_cmp_lt_i32_e32 vcc, v20, v1
	s_nop 1
	v_cndmask_b32_e32 v9, v9, v19, vcc
	v_cndmask_b32_e32 v8, v8, v18, vcc
	;; [unrolled: 1-line block ×4, first 2 shown]
	s_or_b64 exec, exec, s[0:1]
	v_cmp_lt_u64_e32 vcc, v[8:9], v[14:15]
	s_and_saveexec_b64 s[0:1], vcc
	s_cbranch_execz .LBB26_13
.LBB26_17:
	v_mad_u64_u32 v[16:17], s[16:17], v14, 15, v[8:9]
	v_mov_b32_e32 v18, v17
	v_mad_u64_u32 v[18:19], s[16:17], v15, 15, v[18:19]
	v_mov_b32_e32 v17, v18
	v_lshrrev_b64 v[16:17], 4, v[16:17]
	v_lshl_add_u64 v[18:19], v[16:17], 2, s[10:11]
	global_load_dword v20, v[18:19], off
	v_lshl_add_u64 v[18:19], v[16:17], 0, 1
	s_waitcnt vmcnt(0)
	v_cmp_lt_i32_e32 vcc, v20, v1
	s_nop 1
	v_cndmask_b32_e32 v9, v9, v19, vcc
	v_cndmask_b32_e32 v8, v8, v18, vcc
	;; [unrolled: 1-line block ×4, first 2 shown]
	s_or_b64 exec, exec, s[0:1]
	v_cmp_lt_u64_e32 vcc, v[8:9], v[14:15]
	s_and_saveexec_b64 s[0:1], vcc
	s_cbranch_execz .LBB26_21
.LBB26_18:
	s_mov_b64 s[16:17], 0
.LBB26_19:                              ; =>This Inner Loop Header: Depth=1
	v_lshl_add_u64 v[16:17], v[8:9], 0, v[14:15]
	v_lshrrev_b64 v[16:17], 1, v[16:17]
	v_lshl_add_u64 v[18:19], v[16:17], 2, s[10:11]
	global_load_dword v20, v[18:19], off
	v_lshl_add_u64 v[18:19], v[16:17], 0, 1
	s_waitcnt vmcnt(0)
	v_cmp_lt_i32_e32 vcc, v20, v1
	s_nop 1
	v_cndmask_b32_e32 v9, v9, v19, vcc
	v_cndmask_b32_e32 v8, v8, v18, vcc
	;; [unrolled: 1-line block ×4, first 2 shown]
	v_cmp_ge_i64_e32 vcc, v[8:9], v[14:15]
	s_or_b64 s[16:17], vcc, s[16:17]
	s_andn2_b64 exec, exec, s[16:17]
	s_cbranch_execnz .LBB26_19
; %bb.20:
	s_or_b64 exec, exec, s[16:17]
.LBB26_21:
	s_or_b64 exec, exec, s[0:1]
	v_mov_b64_e32 v[14:15], 0
	v_cmp_lt_i64_e32 vcc, 0, v[12:13]
	v_mov_b64_e32 v[16:17], v[12:13]
	s_and_saveexec_b64 s[0:1], vcc
	s_cbranch_execnz .LBB26_26
; %bb.22:
	s_or_b64 exec, exec, s[0:1]
	v_cmp_lt_i64_e32 vcc, v[14:15], v[16:17]
	s_and_saveexec_b64 s[0:1], vcc
	s_cbranch_execnz .LBB26_27
.LBB26_23:
	s_or_b64 exec, exec, s[0:1]
	v_cmp_lt_i64_e32 vcc, v[14:15], v[16:17]
	s_and_saveexec_b64 s[0:1], vcc
	s_cbranch_execnz .LBB26_28
.LBB26_24:
	s_or_b64 exec, exec, s[0:1]
	v_cmp_lt_i64_e32 vcc, v[14:15], v[16:17]
	s_and_saveexec_b64 s[0:1], vcc
	s_cbranch_execnz .LBB26_29
.LBB26_25:
	s_or_b64 exec, exec, s[0:1]
	v_cmp_lt_i64_e32 vcc, v[14:15], v[16:17]
	s_and_saveexec_b64 s[0:1], vcc
	s_cbranch_execnz .LBB26_30
	s_branch .LBB26_33
.LBB26_26:
	s_movk_i32 s19, 0x1ff
	v_mad_u64_u32 v[14:15], s[16:17], v12, s19, 0
	v_mov_b32_e32 v16, v15
	v_mad_u64_u32 v[16:17], s[16:17], v13, s19, v[16:17]
	v_mov_b32_e32 v15, v16
	v_lshrrev_b64 v[16:17], 9, v[14:15]
	v_lshl_add_u64 v[14:15], v[16:17], 2, s[12:13]
	global_load_dword v18, v[14:15], off
	v_lshl_add_u64 v[14:15], v[16:17], 0, 1
	s_waitcnt vmcnt(0)
	v_cmp_lt_i32_e32 vcc, v18, v1
	s_nop 1
	v_cndmask_b32_e32 v15, 0, v15, vcc
	v_cndmask_b32_e32 v14, 0, v14, vcc
	;; [unrolled: 1-line block ×4, first 2 shown]
	s_or_b64 exec, exec, s[0:1]
	v_cmp_lt_i64_e32 vcc, v[14:15], v[16:17]
	s_and_saveexec_b64 s[0:1], vcc
	s_cbranch_execz .LBB26_23
.LBB26_27:
	s_movk_i32 s19, 0x7f
	v_mad_u64_u32 v[18:19], s[16:17], v16, s19, v[14:15]
	v_mov_b32_e32 v20, v19
	v_mad_u64_u32 v[20:21], s[16:17], v17, s19, v[20:21]
	v_mov_b32_e32 v19, v20
	v_lshrrev_b64 v[18:19], 7, v[18:19]
	v_lshl_add_u64 v[20:21], v[18:19], 2, s[12:13]
	global_load_dword v22, v[20:21], off
	v_lshl_add_u64 v[20:21], v[18:19], 0, 1
	s_waitcnt vmcnt(0)
	v_cmp_lt_i32_e32 vcc, v22, v1
	s_nop 1
	v_cndmask_b32_e32 v15, v15, v21, vcc
	v_cndmask_b32_e32 v14, v14, v20, vcc
	;; [unrolled: 1-line block ×4, first 2 shown]
	s_or_b64 exec, exec, s[0:1]
	v_cmp_lt_i64_e32 vcc, v[14:15], v[16:17]
	s_and_saveexec_b64 s[0:1], vcc
	s_cbranch_execz .LBB26_24
.LBB26_28:
	v_mad_u64_u32 v[18:19], s[16:17], v16, 31, v[14:15]
	v_mov_b32_e32 v20, v19
	v_mad_u64_u32 v[20:21], s[16:17], v17, 31, v[20:21]
	v_mov_b32_e32 v19, v20
	v_lshrrev_b64 v[18:19], 5, v[18:19]
	v_lshl_add_u64 v[20:21], v[18:19], 2, s[12:13]
	global_load_dword v22, v[20:21], off
	v_lshl_add_u64 v[20:21], v[18:19], 0, 1
	s_waitcnt vmcnt(0)
	v_cmp_lt_i32_e32 vcc, v22, v1
	s_nop 1
	v_cndmask_b32_e32 v15, v15, v21, vcc
	v_cndmask_b32_e32 v14, v14, v20, vcc
	v_cndmask_b32_e32 v17, v19, v17, vcc
	v_cndmask_b32_e32 v16, v18, v16, vcc
	s_or_b64 exec, exec, s[0:1]
	v_cmp_lt_i64_e32 vcc, v[14:15], v[16:17]
	s_and_saveexec_b64 s[0:1], vcc
	s_cbranch_execz .LBB26_25
.LBB26_29:
	v_mad_u64_u32 v[18:19], s[16:17], v16, 15, v[14:15]
	v_mov_b32_e32 v20, v19
	v_mad_u64_u32 v[20:21], s[16:17], v17, 15, v[20:21]
	v_mov_b32_e32 v19, v20
	v_lshrrev_b64 v[18:19], 4, v[18:19]
	v_lshl_add_u64 v[20:21], v[18:19], 2, s[12:13]
	global_load_dword v22, v[20:21], off
	v_lshl_add_u64 v[20:21], v[18:19], 0, 1
	s_waitcnt vmcnt(0)
	v_cmp_lt_i32_e32 vcc, v22, v1
	s_nop 1
	v_cndmask_b32_e32 v15, v15, v21, vcc
	v_cndmask_b32_e32 v14, v14, v20, vcc
	;; [unrolled: 1-line block ×4, first 2 shown]
	s_or_b64 exec, exec, s[0:1]
	v_cmp_lt_i64_e32 vcc, v[14:15], v[16:17]
	s_and_saveexec_b64 s[0:1], vcc
	s_cbranch_execz .LBB26_33
.LBB26_30:
	s_mov_b64 s[16:17], 0
.LBB26_31:                              ; =>This Inner Loop Header: Depth=1
	v_lshl_add_u64 v[18:19], v[14:15], 0, v[16:17]
	v_lshrrev_b64 v[18:19], 1, v[18:19]
	v_lshl_add_u64 v[20:21], v[18:19], 2, s[12:13]
	global_load_dword v22, v[20:21], off
	v_lshl_add_u64 v[20:21], v[18:19], 0, 1
	s_waitcnt vmcnt(0)
	v_cmp_lt_i32_e32 vcc, v22, v1
	s_nop 1
	v_cndmask_b32_e32 v15, v15, v21, vcc
	v_cndmask_b32_e32 v14, v14, v20, vcc
	;; [unrolled: 1-line block ×4, first 2 shown]
	v_cmp_ge_i64_e32 vcc, v[14:15], v[16:17]
	s_or_b64 s[16:17], vcc, s[16:17]
	s_andn2_b64 exec, exec, s[16:17]
	s_cbranch_execnz .LBB26_31
; %bb.32:
	s_or_b64 exec, exec, s[16:17]
.LBB26_33:
	s_or_b64 exec, exec, s[0:1]
	v_sub_co_u32_e32 v2, vcc, v2, v8
	v_mov_b32_e32 v20, s7
	s_nop 0
	v_subb_co_u32_e32 v3, vcc, v3, v9, vcc
	v_sub_co_u32_e32 v18, vcc, v12, v14
	s_nop 1
	v_subb_co_u32_e32 v19, vcc, v13, v15, vcc
	v_lshl_add_u64 v[16:17], v[18:19], 0, v[2:3]
	v_ashrrev_i64 v[2:3], 1, v[16:17]
	v_cmp_gt_i64_e32 vcc, v[2:3], v[18:19]
	s_nop 1
	v_cndmask_b32_e32 v3, v19, v3, vcc
	v_cndmask_b32_e32 v2, v18, v2, vcc
	v_lshl_add_u64 v[14:15], v[14:15], 0, v[2:3]
	v_lshl_add_u64 v[14:15], v[14:15], 0, 1
	v_cmp_gt_i64_e32 vcc, s[6:7], v[14:15]
	s_nop 1
	v_cndmask_b32_e32 v15, v20, v15, vcc
	v_mov_b32_e32 v20, s6
	v_cndmask_b32_e32 v14, v20, v14, vcc
	v_sub_co_u32_e32 v14, vcc, v14, v12
	s_nop 1
	v_subb_co_u32_e32 v15, vcc, v15, v13, vcc
	v_mov_b64_e32 v[12:13], 0
	v_cmp_lt_i64_e32 vcc, 0, v[14:15]
	s_and_saveexec_b64 s[0:1], vcc
	s_cbranch_execz .LBB26_37
; %bb.34:
	s_mov_b64 s[16:17], 0
	v_mov_b64_e32 v[12:13], 0
.LBB26_35:                              ; =>This Inner Loop Header: Depth=1
	v_lshl_add_u64 v[20:21], v[12:13], 0, v[14:15]
	v_lshrrev_b64 v[20:21], 1, v[20:21]
	v_lshl_add_u64 v[22:23], v[20:21], 2, v[10:11]
	global_load_dword v24, v[22:23], off
	v_lshl_add_u64 v[22:23], v[20:21], 0, 1
	s_waitcnt vmcnt(0)
	v_cmp_lt_i32_e32 vcc, v1, v24
	s_nop 1
	v_cndmask_b32_e32 v13, v23, v13, vcc
	v_cndmask_b32_e32 v12, v22, v12, vcc
	;; [unrolled: 1-line block ×4, first 2 shown]
	v_cmp_ge_i64_e32 vcc, v[12:13], v[14:15]
	s_or_b64 s[16:17], vcc, s[16:17]
	s_andn2_b64 exec, exec, s[16:17]
	s_cbranch_execnz .LBB26_35
; %bb.36:
	s_or_b64 exec, exec, s[16:17]
	v_ashrrev_i32_e32 v13, 31, v12
.LBB26_37:
	s_or_b64 exec, exec, s[0:1]
	v_lshl_add_u64 v[10:11], v[12:13], 0, v[18:19]
	v_cmp_lt_i64_e32 vcc, v[10:11], v[2:3]
	v_cmp_lt_i64_e64 s[0:1], v[2:3], v[10:11]
	s_nop 0
	v_cndmask_b32_e32 v12, v2, v10, vcc
	v_cndmask_b32_e32 v13, v3, v11, vcc
	v_sub_co_u32_e32 v14, vcc, v16, v12
	s_nop 1
	v_subb_co_u32_e32 v15, vcc, v17, v13, vcc
	v_lshl_add_u64 v[12:13], v[12:13], 0, 1
	v_cmp_eq_u64_e32 vcc, v[14:15], v[12:13]
	s_and_b64 s[0:1], vcc, s[0:1]
	v_cndmask_b32_e64 v10, 0, 1, s[0:1]
	s_mov_b32 s0, 0
	v_mov_b32_e32 v11, s0
	v_lshl_add_u64 v[2:3], v[14:15], 0, v[8:9]
.LBB26_38:
	s_or_b64 exec, exec, s[14:15]
	v_lshl_add_u64 v[8:9], v[4:5], 4, s[8:9]
	v_lshl_add_u64 v[4:5], v[10:11], 0, v[6:7]
	v_sub_co_u32_e32 v4, vcc, v4, v2
	s_nop 1
	v_subb_co_u32_e32 v5, vcc, v5, v3, vcc
	global_store_dwordx4 v[8:9], v[2:5], off
.LBB26_39:
	s_or_b64 exec, exec, s[2:3]
	s_cbranch_execnz .LBB26_2
.LBB26_40:
	v_add_u32_e32 v2, s18, v0
	s_movk_i32 s0, 0xfff
	s_waitcnt vmcnt(1)
	v_mad_u64_u32 v[0:1], s[0:1], v2, s0, 0
	s_add_u32 s0, s6, s4
	s_addc_u32 s1, s7, s5
	v_mov_b32_e32 v4, s1
	v_cmp_lt_i64_e32 vcc, s[0:1], v[0:1]
	v_mov_b32_e32 v6, s5
	v_mov_b32_e32 v3, 0
	v_cndmask_b32_e32 v5, v1, v4, vcc
	v_mov_b32_e32 v1, s0
	v_cndmask_b32_e32 v4, v0, v1, vcc
	v_mov_b32_e32 v1, s7
	v_subrev_co_u32_e32 v0, vcc, s6, v4
	s_mov_b64 s[0:1], 0
	s_nop 0
	v_subb_co_u32_e32 v1, vcc, v5, v1, vcc
	v_cmp_lt_i64_e32 vcc, 0, v[0:1]
	s_nop 1
	v_cndmask_b32_e32 v1, 0, v1, vcc
	v_cndmask_b32_e32 v0, 0, v0, vcc
	v_cmp_lt_i64_e32 vcc, s[4:5], v[4:5]
	s_nop 1
	v_cndmask_b32_e32 v7, v5, v6, vcc
	v_mov_b32_e32 v6, s4
	v_cndmask_b32_e32 v6, v4, v6, vcc
	v_cmp_lt_i64_e32 vcc, v[0:1], v[6:7]
	s_and_saveexec_b64 s[2:3], vcc
	s_cbranch_execz .LBB26_44
; %bb.41:
	v_lshl_add_u64 v[8:9], v[4:5], 2, s[12:13]
.LBB26_42:                              ; =>This Inner Loop Header: Depth=1
	v_lshl_add_u64 v[10:11], v[6:7], 0, v[0:1]
	v_lshrrev_b64 v[10:11], 1, v[10:11]
	v_lshlrev_b64 v[12:13], 2, v[10:11]
	v_lshl_add_u64 v[14:15], s[10:11], 0, v[12:13]
	v_xor_b32_e32 v13, -1, v13
	v_xor_b32_e32 v12, -4, v12
	v_lshl_add_u64 v[12:13], v[8:9], 0, v[12:13]
	global_load_dword v14, v[14:15], off
	s_nop 0
	global_load_dword v15, v[12:13], off
	v_lshl_add_u64 v[12:13], v[10:11], 0, 1
	s_waitcnt vmcnt(0)
	v_cmp_lt_i32_e32 vcc, v15, v14
	s_nop 1
	v_cndmask_b32_e32 v7, v7, v11, vcc
	v_cndmask_b32_e32 v6, v6, v10, vcc
	;; [unrolled: 1-line block ×4, first 2 shown]
	v_cmp_ge_i64_e32 vcc, v[0:1], v[6:7]
	s_or_b64 s[0:1], vcc, s[0:1]
	s_andn2_b64 exec, exec, s[0:1]
	s_cbranch_execnz .LBB26_42
; %bb.43:
	s_or_b64 exec, exec, s[0:1]
.LBB26_44:
	s_or_b64 exec, exec, s[2:3]
	v_sub_co_u32_e32 v10, vcc, v4, v0
	v_mov_b64_e32 v[8:9], 0
	s_nop 0
	v_subb_co_u32_e32 v11, vcc, v5, v1, vcc
	v_cmp_gt_i64_e32 vcc, s[6:7], v[10:11]
	s_and_saveexec_b64 s[2:3], vcc
	s_cbranch_execz .LBB26_74
; %bb.45:
	v_lshl_add_u64 v[8:9], v[10:11], 2, s[12:13]
	global_load_dword v18, v[8:9], off
	v_mov_b64_e32 v[6:7], 0
	v_cmp_lt_i64_e32 vcc, 0, v[0:1]
	v_mov_b64_e32 v[12:13], 0
	s_and_saveexec_b64 s[0:1], vcc
	s_cbranch_execnz .LBB26_50
; %bb.46:
	s_or_b64 exec, exec, s[0:1]
	v_cmp_lt_u64_e32 vcc, v[6:7], v[12:13]
	s_and_saveexec_b64 s[0:1], vcc
	s_cbranch_execnz .LBB26_51
.LBB26_47:
	s_or_b64 exec, exec, s[0:1]
	v_cmp_lt_u64_e32 vcc, v[6:7], v[12:13]
	s_and_saveexec_b64 s[0:1], vcc
	s_cbranch_execnz .LBB26_52
.LBB26_48:
	s_or_b64 exec, exec, s[0:1]
	v_cmp_lt_u64_e32 vcc, v[6:7], v[12:13]
	s_and_saveexec_b64 s[0:1], vcc
	s_cbranch_execnz .LBB26_53
.LBB26_49:
	s_or_b64 exec, exec, s[0:1]
	v_cmp_lt_u64_e32 vcc, v[6:7], v[12:13]
	s_and_saveexec_b64 s[0:1], vcc
	s_cbranch_execnz .LBB26_54
	s_branch .LBB26_57
.LBB26_50:
	s_movk_i32 s14, 0x1ff
	v_mad_u64_u32 v[6:7], s[4:5], v0, s14, 0
	v_mov_b32_e32 v12, v7
	v_mad_u64_u32 v[12:13], s[4:5], v1, s14, v[12:13]
	v_mov_b32_e32 v7, v12
	v_lshrrev_b64 v[12:13], 9, v[6:7]
	v_lshl_add_u64 v[6:7], v[12:13], 2, s[10:11]
	global_load_dword v14, v[6:7], off
	v_lshl_add_u64 v[6:7], v[12:13], 0, 1
	s_waitcnt vmcnt(0)
	v_cmp_lt_i32_e32 vcc, v14, v18
	s_nop 1
	v_cndmask_b32_e32 v7, 0, v7, vcc
	v_cndmask_b32_e32 v6, 0, v6, vcc
	;; [unrolled: 1-line block ×4, first 2 shown]
	s_or_b64 exec, exec, s[0:1]
	v_cmp_lt_u64_e32 vcc, v[6:7], v[12:13]
	s_and_saveexec_b64 s[0:1], vcc
	s_cbranch_execz .LBB26_47
.LBB26_51:
	s_movk_i32 s14, 0x7f
	v_mad_u64_u32 v[14:15], s[4:5], v12, s14, v[6:7]
	v_mov_b32_e32 v16, v15
	v_mad_u64_u32 v[16:17], s[4:5], v13, s14, v[16:17]
	v_mov_b32_e32 v15, v16
	v_lshrrev_b64 v[14:15], 7, v[14:15]
	v_lshl_add_u64 v[16:17], v[14:15], 2, s[10:11]
	global_load_dword v19, v[16:17], off
	v_lshl_add_u64 v[16:17], v[14:15], 0, 1
	s_waitcnt vmcnt(0)
	v_cmp_lt_i32_e32 vcc, v19, v18
	s_nop 1
	v_cndmask_b32_e32 v7, v7, v17, vcc
	v_cndmask_b32_e32 v6, v6, v16, vcc
	;; [unrolled: 1-line block ×4, first 2 shown]
	s_or_b64 exec, exec, s[0:1]
	v_cmp_lt_u64_e32 vcc, v[6:7], v[12:13]
	s_and_saveexec_b64 s[0:1], vcc
	s_cbranch_execz .LBB26_48
.LBB26_52:
	v_mad_u64_u32 v[14:15], s[4:5], v12, 31, v[6:7]
	v_mov_b32_e32 v16, v15
	v_mad_u64_u32 v[16:17], s[4:5], v13, 31, v[16:17]
	v_mov_b32_e32 v15, v16
	v_lshrrev_b64 v[14:15], 5, v[14:15]
	v_lshl_add_u64 v[16:17], v[14:15], 2, s[10:11]
	global_load_dword v19, v[16:17], off
	v_lshl_add_u64 v[16:17], v[14:15], 0, 1
	s_waitcnt vmcnt(0)
	v_cmp_lt_i32_e32 vcc, v19, v18
	s_nop 1
	v_cndmask_b32_e32 v7, v7, v17, vcc
	v_cndmask_b32_e32 v6, v6, v16, vcc
	;; [unrolled: 1-line block ×4, first 2 shown]
	s_or_b64 exec, exec, s[0:1]
	v_cmp_lt_u64_e32 vcc, v[6:7], v[12:13]
	s_and_saveexec_b64 s[0:1], vcc
	s_cbranch_execz .LBB26_49
.LBB26_53:
	v_mad_u64_u32 v[14:15], s[4:5], v12, 15, v[6:7]
	v_mov_b32_e32 v16, v15
	v_mad_u64_u32 v[16:17], s[4:5], v13, 15, v[16:17]
	v_mov_b32_e32 v15, v16
	v_lshrrev_b64 v[14:15], 4, v[14:15]
	v_lshl_add_u64 v[16:17], v[14:15], 2, s[10:11]
	global_load_dword v19, v[16:17], off
	v_lshl_add_u64 v[16:17], v[14:15], 0, 1
	s_waitcnt vmcnt(0)
	v_cmp_lt_i32_e32 vcc, v19, v18
	s_nop 1
	v_cndmask_b32_e32 v7, v7, v17, vcc
	v_cndmask_b32_e32 v6, v6, v16, vcc
	;; [unrolled: 1-line block ×4, first 2 shown]
	s_or_b64 exec, exec, s[0:1]
	v_cmp_lt_u64_e32 vcc, v[6:7], v[12:13]
	s_and_saveexec_b64 s[0:1], vcc
	s_cbranch_execz .LBB26_57
.LBB26_54:
	s_mov_b64 s[4:5], 0
.LBB26_55:                              ; =>This Inner Loop Header: Depth=1
	v_lshl_add_u64 v[14:15], v[6:7], 0, v[12:13]
	v_lshrrev_b64 v[14:15], 1, v[14:15]
	v_lshl_add_u64 v[16:17], v[14:15], 2, s[10:11]
	global_load_dword v19, v[16:17], off
	v_lshl_add_u64 v[16:17], v[14:15], 0, 1
	s_waitcnt vmcnt(0)
	v_cmp_lt_i32_e32 vcc, v19, v18
	s_nop 1
	v_cndmask_b32_e32 v7, v7, v17, vcc
	v_cndmask_b32_e32 v6, v6, v16, vcc
	;; [unrolled: 1-line block ×4, first 2 shown]
	v_cmp_ge_i64_e32 vcc, v[6:7], v[12:13]
	s_or_b64 s[4:5], vcc, s[4:5]
	s_andn2_b64 exec, exec, s[4:5]
	s_cbranch_execnz .LBB26_55
; %bb.56:
	s_or_b64 exec, exec, s[4:5]
.LBB26_57:
	s_or_b64 exec, exec, s[0:1]
	v_mov_b64_e32 v[12:13], 0
	v_cmp_lt_i64_e32 vcc, 0, v[10:11]
	v_mov_b64_e32 v[14:15], v[10:11]
	s_and_saveexec_b64 s[0:1], vcc
	s_cbranch_execnz .LBB26_62
; %bb.58:
	s_or_b64 exec, exec, s[0:1]
	v_cmp_lt_i64_e32 vcc, v[12:13], v[14:15]
	s_and_saveexec_b64 s[0:1], vcc
	s_cbranch_execnz .LBB26_63
.LBB26_59:
	s_or_b64 exec, exec, s[0:1]
	v_cmp_lt_i64_e32 vcc, v[12:13], v[14:15]
	s_and_saveexec_b64 s[0:1], vcc
	s_cbranch_execnz .LBB26_64
.LBB26_60:
	s_or_b64 exec, exec, s[0:1]
	v_cmp_lt_i64_e32 vcc, v[12:13], v[14:15]
	s_and_saveexec_b64 s[0:1], vcc
	s_cbranch_execnz .LBB26_65
.LBB26_61:
	s_or_b64 exec, exec, s[0:1]
	v_cmp_lt_i64_e32 vcc, v[12:13], v[14:15]
	s_and_saveexec_b64 s[0:1], vcc
	s_cbranch_execnz .LBB26_66
	s_branch .LBB26_69
.LBB26_62:
	s_movk_i32 s10, 0x1ff
	v_mad_u64_u32 v[12:13], s[4:5], v10, s10, 0
	v_mov_b32_e32 v14, v13
	v_mad_u64_u32 v[14:15], s[4:5], v11, s10, v[14:15]
	v_mov_b32_e32 v13, v14
	v_lshrrev_b64 v[14:15], 9, v[12:13]
	v_lshl_add_u64 v[12:13], v[14:15], 2, s[12:13]
	global_load_dword v16, v[12:13], off
	v_lshl_add_u64 v[12:13], v[14:15], 0, 1
	s_waitcnt vmcnt(0)
	v_cmp_lt_i32_e32 vcc, v16, v18
	s_nop 1
	v_cndmask_b32_e32 v13, 0, v13, vcc
	v_cndmask_b32_e32 v12, 0, v12, vcc
	;; [unrolled: 1-line block ×4, first 2 shown]
	s_or_b64 exec, exec, s[0:1]
	v_cmp_lt_i64_e32 vcc, v[12:13], v[14:15]
	s_and_saveexec_b64 s[0:1], vcc
	s_cbranch_execz .LBB26_59
.LBB26_63:
	s_movk_i32 s10, 0x7f
	v_mad_u64_u32 v[16:17], s[4:5], v14, s10, v[12:13]
	v_mov_b32_e32 v20, v17
	v_mad_u64_u32 v[20:21], s[4:5], v15, s10, v[20:21]
	v_mov_b32_e32 v17, v20
	v_lshrrev_b64 v[16:17], 7, v[16:17]
	v_lshl_add_u64 v[20:21], v[16:17], 2, s[12:13]
	global_load_dword v19, v[20:21], off
	v_lshl_add_u64 v[20:21], v[16:17], 0, 1
	s_waitcnt vmcnt(0)
	v_cmp_lt_i32_e32 vcc, v19, v18
	s_nop 1
	v_cndmask_b32_e32 v13, v13, v21, vcc
	v_cndmask_b32_e32 v12, v12, v20, vcc
	;; [unrolled: 1-line block ×4, first 2 shown]
	s_or_b64 exec, exec, s[0:1]
	v_cmp_lt_i64_e32 vcc, v[12:13], v[14:15]
	s_and_saveexec_b64 s[0:1], vcc
	s_cbranch_execz .LBB26_60
.LBB26_64:
	v_mad_u64_u32 v[16:17], s[4:5], v14, 31, v[12:13]
	v_mov_b32_e32 v20, v17
	v_mad_u64_u32 v[20:21], s[4:5], v15, 31, v[20:21]
	v_mov_b32_e32 v17, v20
	v_lshrrev_b64 v[16:17], 5, v[16:17]
	v_lshl_add_u64 v[20:21], v[16:17], 2, s[12:13]
	global_load_dword v19, v[20:21], off
	v_lshl_add_u64 v[20:21], v[16:17], 0, 1
	s_waitcnt vmcnt(0)
	v_cmp_lt_i32_e32 vcc, v19, v18
	s_nop 1
	v_cndmask_b32_e32 v13, v13, v21, vcc
	v_cndmask_b32_e32 v12, v12, v20, vcc
	;; [unrolled: 1-line block ×4, first 2 shown]
	s_or_b64 exec, exec, s[0:1]
	v_cmp_lt_i64_e32 vcc, v[12:13], v[14:15]
	s_and_saveexec_b64 s[0:1], vcc
	s_cbranch_execz .LBB26_61
.LBB26_65:
	v_mad_u64_u32 v[16:17], s[4:5], v14, 15, v[12:13]
	v_mov_b32_e32 v20, v17
	v_mad_u64_u32 v[20:21], s[4:5], v15, 15, v[20:21]
	v_mov_b32_e32 v17, v20
	v_lshrrev_b64 v[16:17], 4, v[16:17]
	v_lshl_add_u64 v[20:21], v[16:17], 2, s[12:13]
	global_load_dword v19, v[20:21], off
	v_lshl_add_u64 v[20:21], v[16:17], 0, 1
	s_waitcnt vmcnt(0)
	v_cmp_lt_i32_e32 vcc, v19, v18
	s_nop 1
	v_cndmask_b32_e32 v13, v13, v21, vcc
	v_cndmask_b32_e32 v12, v12, v20, vcc
	;; [unrolled: 1-line block ×4, first 2 shown]
	s_or_b64 exec, exec, s[0:1]
	v_cmp_lt_i64_e32 vcc, v[12:13], v[14:15]
	s_and_saveexec_b64 s[0:1], vcc
	s_cbranch_execz .LBB26_69
.LBB26_66:
	s_mov_b64 s[4:5], 0
.LBB26_67:                              ; =>This Inner Loop Header: Depth=1
	v_lshl_add_u64 v[16:17], v[12:13], 0, v[14:15]
	v_lshrrev_b64 v[16:17], 1, v[16:17]
	v_lshl_add_u64 v[20:21], v[16:17], 2, s[12:13]
	global_load_dword v19, v[20:21], off
	v_lshl_add_u64 v[20:21], v[16:17], 0, 1
	s_waitcnt vmcnt(0)
	v_cmp_lt_i32_e32 vcc, v19, v18
	s_nop 1
	v_cndmask_b32_e32 v13, v13, v21, vcc
	v_cndmask_b32_e32 v12, v12, v20, vcc
	;; [unrolled: 1-line block ×4, first 2 shown]
	v_cmp_ge_i64_e32 vcc, v[12:13], v[14:15]
	s_or_b64 s[4:5], vcc, s[4:5]
	s_andn2_b64 exec, exec, s[4:5]
	s_cbranch_execnz .LBB26_67
; %bb.68:
	s_or_b64 exec, exec, s[4:5]
.LBB26_69:
	s_or_b64 exec, exec, s[0:1]
	v_sub_co_u32_e32 v0, vcc, v0, v6
	v_mov_b32_e32 v19, s7
	s_nop 0
	v_subb_co_u32_e32 v1, vcc, v1, v7, vcc
	v_sub_co_u32_e32 v16, vcc, v10, v12
	s_nop 1
	v_subb_co_u32_e32 v17, vcc, v11, v13, vcc
	v_lshl_add_u64 v[14:15], v[16:17], 0, v[0:1]
	v_ashrrev_i64 v[0:1], 1, v[14:15]
	v_cmp_gt_i64_e32 vcc, v[0:1], v[16:17]
	s_nop 1
	v_cndmask_b32_e32 v1, v17, v1, vcc
	v_cndmask_b32_e32 v0, v16, v0, vcc
	v_lshl_add_u64 v[12:13], v[12:13], 0, v[0:1]
	v_lshl_add_u64 v[12:13], v[12:13], 0, 1
	v_cmp_gt_i64_e32 vcc, s[6:7], v[12:13]
	s_nop 1
	v_cndmask_b32_e32 v13, v19, v13, vcc
	v_mov_b32_e32 v19, s6
	v_cndmask_b32_e32 v12, v19, v12, vcc
	v_sub_co_u32_e32 v12, vcc, v12, v10
	s_nop 1
	v_subb_co_u32_e32 v13, vcc, v13, v11, vcc
	v_mov_b64_e32 v[10:11], 0
	v_cmp_lt_i64_e32 vcc, 0, v[12:13]
	s_and_saveexec_b64 s[0:1], vcc
	s_cbranch_execz .LBB26_73
; %bb.70:
	s_mov_b64 s[4:5], 0
	v_mov_b64_e32 v[10:11], 0
.LBB26_71:                              ; =>This Inner Loop Header: Depth=1
	v_lshl_add_u64 v[20:21], v[10:11], 0, v[12:13]
	v_lshrrev_b64 v[20:21], 1, v[20:21]
	v_lshl_add_u64 v[22:23], v[20:21], 2, v[8:9]
	global_load_dword v19, v[22:23], off
	v_lshl_add_u64 v[22:23], v[20:21], 0, 1
	s_waitcnt vmcnt(0)
	v_cmp_lt_i32_e32 vcc, v18, v19
	s_nop 1
	v_cndmask_b32_e32 v11, v23, v11, vcc
	v_cndmask_b32_e32 v10, v22, v10, vcc
	;; [unrolled: 1-line block ×4, first 2 shown]
	v_cmp_ge_i64_e32 vcc, v[10:11], v[12:13]
	s_or_b64 s[4:5], vcc, s[4:5]
	s_andn2_b64 exec, exec, s[4:5]
	s_cbranch_execnz .LBB26_71
; %bb.72:
	s_or_b64 exec, exec, s[4:5]
	v_ashrrev_i32_e32 v11, 31, v10
.LBB26_73:
	s_or_b64 exec, exec, s[0:1]
	v_lshl_add_u64 v[8:9], v[10:11], 0, v[16:17]
	v_cmp_lt_i64_e32 vcc, v[8:9], v[0:1]
	v_cmp_lt_i64_e64 s[0:1], v[0:1], v[8:9]
	s_nop 0
	v_cndmask_b32_e32 v10, v0, v8, vcc
	v_cndmask_b32_e32 v11, v1, v9, vcc
	v_sub_co_u32_e32 v12, vcc, v14, v10
	s_nop 1
	v_subb_co_u32_e32 v13, vcc, v15, v11, vcc
	v_lshl_add_u64 v[10:11], v[10:11], 0, 1
	v_cmp_eq_u64_e32 vcc, v[12:13], v[10:11]
	s_and_b64 s[0:1], vcc, s[0:1]
	v_cndmask_b32_e64 v8, 0, 1, s[0:1]
	s_mov_b32 s0, 0
	v_mov_b32_e32 v9, s0
	v_lshl_add_u64 v[0:1], v[12:13], 0, v[6:7]
.LBB26_74:
	s_or_b64 exec, exec, s[2:3]
	v_lshl_add_u64 v[6:7], v[2:3], 4, s[8:9]
	v_lshl_add_u64 v[2:3], v[8:9], 0, v[4:5]
	v_sub_co_u32_e32 v2, vcc, v2, v0
	s_nop 1
	v_subb_co_u32_e32 v3, vcc, v3, v1, vcc
	global_store_dwordx4 v[6:7], v[0:3], off
	s_endpgm
	.section	.rodata,"a",@progbits
	.p2align	6, 0x0
	.amdhsa_kernel _ZN6thrust23THRUST_200600_302600_NS11hip_rocprim14__parallel_for6kernelILj256EZNS1_16__set_operations9doit_stepILb0ENS0_6detail15normal_iteratorINS0_10device_ptrIKiEEEESB_PiSC_lNS7_INS8_IiEEEESC_NS0_4lessIiEENS4_31serial_set_symmetric_differenceEEE10hipError_tPvRmT0_T1_T2_T3_T4_SP_T5_T6_PSP_T7_T8_P12ihipStream_tbEUllE_jLj1EEEvSL_SM_SM_
		.amdhsa_group_segment_fixed_size 0
		.amdhsa_private_segment_fixed_size 0
		.amdhsa_kernarg_size 56
		.amdhsa_user_sgpr_count 2
		.amdhsa_user_sgpr_dispatch_ptr 0
		.amdhsa_user_sgpr_queue_ptr 0
		.amdhsa_user_sgpr_kernarg_segment_ptr 1
		.amdhsa_user_sgpr_dispatch_id 0
		.amdhsa_user_sgpr_kernarg_preload_length 0
		.amdhsa_user_sgpr_kernarg_preload_offset 0
		.amdhsa_user_sgpr_private_segment_size 0
		.amdhsa_uses_dynamic_stack 0
		.amdhsa_enable_private_segment 0
		.amdhsa_system_sgpr_workgroup_id_x 1
		.amdhsa_system_sgpr_workgroup_id_y 0
		.amdhsa_system_sgpr_workgroup_id_z 0
		.amdhsa_system_sgpr_workgroup_info 0
		.amdhsa_system_vgpr_workitem_id 0
		.amdhsa_next_free_vgpr 25
		.amdhsa_next_free_sgpr 20
		.amdhsa_accum_offset 28
		.amdhsa_reserve_vcc 1
		.amdhsa_float_round_mode_32 0
		.amdhsa_float_round_mode_16_64 0
		.amdhsa_float_denorm_mode_32 3
		.amdhsa_float_denorm_mode_16_64 3
		.amdhsa_dx10_clamp 1
		.amdhsa_ieee_mode 1
		.amdhsa_fp16_overflow 0
		.amdhsa_tg_split 0
		.amdhsa_exception_fp_ieee_invalid_op 0
		.amdhsa_exception_fp_denorm_src 0
		.amdhsa_exception_fp_ieee_div_zero 0
		.amdhsa_exception_fp_ieee_overflow 0
		.amdhsa_exception_fp_ieee_underflow 0
		.amdhsa_exception_fp_ieee_inexact 0
		.amdhsa_exception_int_div_zero 0
	.end_amdhsa_kernel
	.section	.text._ZN6thrust23THRUST_200600_302600_NS11hip_rocprim14__parallel_for6kernelILj256EZNS1_16__set_operations9doit_stepILb0ENS0_6detail15normal_iteratorINS0_10device_ptrIKiEEEESB_PiSC_lNS7_INS8_IiEEEESC_NS0_4lessIiEENS4_31serial_set_symmetric_differenceEEE10hipError_tPvRmT0_T1_T2_T3_T4_SP_T5_T6_PSP_T7_T8_P12ihipStream_tbEUllE_jLj1EEEvSL_SM_SM_,"axG",@progbits,_ZN6thrust23THRUST_200600_302600_NS11hip_rocprim14__parallel_for6kernelILj256EZNS1_16__set_operations9doit_stepILb0ENS0_6detail15normal_iteratorINS0_10device_ptrIKiEEEESB_PiSC_lNS7_INS8_IiEEEESC_NS0_4lessIiEENS4_31serial_set_symmetric_differenceEEE10hipError_tPvRmT0_T1_T2_T3_T4_SP_T5_T6_PSP_T7_T8_P12ihipStream_tbEUllE_jLj1EEEvSL_SM_SM_,comdat
.Lfunc_end26:
	.size	_ZN6thrust23THRUST_200600_302600_NS11hip_rocprim14__parallel_for6kernelILj256EZNS1_16__set_operations9doit_stepILb0ENS0_6detail15normal_iteratorINS0_10device_ptrIKiEEEESB_PiSC_lNS7_INS8_IiEEEESC_NS0_4lessIiEENS4_31serial_set_symmetric_differenceEEE10hipError_tPvRmT0_T1_T2_T3_T4_SP_T5_T6_PSP_T7_T8_P12ihipStream_tbEUllE_jLj1EEEvSL_SM_SM_, .Lfunc_end26-_ZN6thrust23THRUST_200600_302600_NS11hip_rocprim14__parallel_for6kernelILj256EZNS1_16__set_operations9doit_stepILb0ENS0_6detail15normal_iteratorINS0_10device_ptrIKiEEEESB_PiSC_lNS7_INS8_IiEEEESC_NS0_4lessIiEENS4_31serial_set_symmetric_differenceEEE10hipError_tPvRmT0_T1_T2_T3_T4_SP_T5_T6_PSP_T7_T8_P12ihipStream_tbEUllE_jLj1EEEvSL_SM_SM_
                                        ; -- End function
	.set _ZN6thrust23THRUST_200600_302600_NS11hip_rocprim14__parallel_for6kernelILj256EZNS1_16__set_operations9doit_stepILb0ENS0_6detail15normal_iteratorINS0_10device_ptrIKiEEEESB_PiSC_lNS7_INS8_IiEEEESC_NS0_4lessIiEENS4_31serial_set_symmetric_differenceEEE10hipError_tPvRmT0_T1_T2_T3_T4_SP_T5_T6_PSP_T7_T8_P12ihipStream_tbEUllE_jLj1EEEvSL_SM_SM_.num_vgpr, 25
	.set _ZN6thrust23THRUST_200600_302600_NS11hip_rocprim14__parallel_for6kernelILj256EZNS1_16__set_operations9doit_stepILb0ENS0_6detail15normal_iteratorINS0_10device_ptrIKiEEEESB_PiSC_lNS7_INS8_IiEEEESC_NS0_4lessIiEENS4_31serial_set_symmetric_differenceEEE10hipError_tPvRmT0_T1_T2_T3_T4_SP_T5_T6_PSP_T7_T8_P12ihipStream_tbEUllE_jLj1EEEvSL_SM_SM_.num_agpr, 0
	.set _ZN6thrust23THRUST_200600_302600_NS11hip_rocprim14__parallel_for6kernelILj256EZNS1_16__set_operations9doit_stepILb0ENS0_6detail15normal_iteratorINS0_10device_ptrIKiEEEESB_PiSC_lNS7_INS8_IiEEEESC_NS0_4lessIiEENS4_31serial_set_symmetric_differenceEEE10hipError_tPvRmT0_T1_T2_T3_T4_SP_T5_T6_PSP_T7_T8_P12ihipStream_tbEUllE_jLj1EEEvSL_SM_SM_.numbered_sgpr, 20
	.set _ZN6thrust23THRUST_200600_302600_NS11hip_rocprim14__parallel_for6kernelILj256EZNS1_16__set_operations9doit_stepILb0ENS0_6detail15normal_iteratorINS0_10device_ptrIKiEEEESB_PiSC_lNS7_INS8_IiEEEESC_NS0_4lessIiEENS4_31serial_set_symmetric_differenceEEE10hipError_tPvRmT0_T1_T2_T3_T4_SP_T5_T6_PSP_T7_T8_P12ihipStream_tbEUllE_jLj1EEEvSL_SM_SM_.num_named_barrier, 0
	.set _ZN6thrust23THRUST_200600_302600_NS11hip_rocprim14__parallel_for6kernelILj256EZNS1_16__set_operations9doit_stepILb0ENS0_6detail15normal_iteratorINS0_10device_ptrIKiEEEESB_PiSC_lNS7_INS8_IiEEEESC_NS0_4lessIiEENS4_31serial_set_symmetric_differenceEEE10hipError_tPvRmT0_T1_T2_T3_T4_SP_T5_T6_PSP_T7_T8_P12ihipStream_tbEUllE_jLj1EEEvSL_SM_SM_.private_seg_size, 0
	.set _ZN6thrust23THRUST_200600_302600_NS11hip_rocprim14__parallel_for6kernelILj256EZNS1_16__set_operations9doit_stepILb0ENS0_6detail15normal_iteratorINS0_10device_ptrIKiEEEESB_PiSC_lNS7_INS8_IiEEEESC_NS0_4lessIiEENS4_31serial_set_symmetric_differenceEEE10hipError_tPvRmT0_T1_T2_T3_T4_SP_T5_T6_PSP_T7_T8_P12ihipStream_tbEUllE_jLj1EEEvSL_SM_SM_.uses_vcc, 1
	.set _ZN6thrust23THRUST_200600_302600_NS11hip_rocprim14__parallel_for6kernelILj256EZNS1_16__set_operations9doit_stepILb0ENS0_6detail15normal_iteratorINS0_10device_ptrIKiEEEESB_PiSC_lNS7_INS8_IiEEEESC_NS0_4lessIiEENS4_31serial_set_symmetric_differenceEEE10hipError_tPvRmT0_T1_T2_T3_T4_SP_T5_T6_PSP_T7_T8_P12ihipStream_tbEUllE_jLj1EEEvSL_SM_SM_.uses_flat_scratch, 0
	.set _ZN6thrust23THRUST_200600_302600_NS11hip_rocprim14__parallel_for6kernelILj256EZNS1_16__set_operations9doit_stepILb0ENS0_6detail15normal_iteratorINS0_10device_ptrIKiEEEESB_PiSC_lNS7_INS8_IiEEEESC_NS0_4lessIiEENS4_31serial_set_symmetric_differenceEEE10hipError_tPvRmT0_T1_T2_T3_T4_SP_T5_T6_PSP_T7_T8_P12ihipStream_tbEUllE_jLj1EEEvSL_SM_SM_.has_dyn_sized_stack, 0
	.set _ZN6thrust23THRUST_200600_302600_NS11hip_rocprim14__parallel_for6kernelILj256EZNS1_16__set_operations9doit_stepILb0ENS0_6detail15normal_iteratorINS0_10device_ptrIKiEEEESB_PiSC_lNS7_INS8_IiEEEESC_NS0_4lessIiEENS4_31serial_set_symmetric_differenceEEE10hipError_tPvRmT0_T1_T2_T3_T4_SP_T5_T6_PSP_T7_T8_P12ihipStream_tbEUllE_jLj1EEEvSL_SM_SM_.has_recursion, 0
	.set _ZN6thrust23THRUST_200600_302600_NS11hip_rocprim14__parallel_for6kernelILj256EZNS1_16__set_operations9doit_stepILb0ENS0_6detail15normal_iteratorINS0_10device_ptrIKiEEEESB_PiSC_lNS7_INS8_IiEEEESC_NS0_4lessIiEENS4_31serial_set_symmetric_differenceEEE10hipError_tPvRmT0_T1_T2_T3_T4_SP_T5_T6_PSP_T7_T8_P12ihipStream_tbEUllE_jLj1EEEvSL_SM_SM_.has_indirect_call, 0
	.section	.AMDGPU.csdata,"",@progbits
; Kernel info:
; codeLenInByte = 3768
; TotalNumSgprs: 26
; NumVgprs: 25
; NumAgprs: 0
; TotalNumVgprs: 25
; ScratchSize: 0
; MemoryBound: 0
; FloatMode: 240
; IeeeMode: 1
; LDSByteSize: 0 bytes/workgroup (compile time only)
; SGPRBlocks: 3
; VGPRBlocks: 3
; NumSGPRsForWavesPerEU: 26
; NumVGPRsForWavesPerEU: 25
; AccumOffset: 28
; Occupancy: 8
; WaveLimiterHint : 0
; COMPUTE_PGM_RSRC2:SCRATCH_EN: 0
; COMPUTE_PGM_RSRC2:USER_SGPR: 2
; COMPUTE_PGM_RSRC2:TRAP_HANDLER: 0
; COMPUTE_PGM_RSRC2:TGID_X_EN: 1
; COMPUTE_PGM_RSRC2:TGID_Y_EN: 0
; COMPUTE_PGM_RSRC2:TGID_Z_EN: 0
; COMPUTE_PGM_RSRC2:TIDIG_COMP_CNT: 0
; COMPUTE_PGM_RSRC3_GFX90A:ACCUM_OFFSET: 6
; COMPUTE_PGM_RSRC3_GFX90A:TG_SPLIT: 0
	.section	.text._ZN6thrust23THRUST_200600_302600_NS11hip_rocprim16__set_operations22lookback_set_op_kernelIN7rocprim17ROCPRIM_400000_NS13kernel_configILj256ELj16ELj4294967295EEELb0ENS0_6detail15normal_iteratorINS0_10device_ptrIKiEEEESD_PiSE_lNS9_INSA_IiEEEESE_NS0_4lessIiEENS2_31serial_set_symmetric_differenceENS5_6detail19lookback_scan_stateIlLb0ELb1EEEEEvT1_T2_T3_T4_T6_T7_T8_T9_PNS0_4pairIT5_SW_EEPSW_T10_NSK_16ordered_block_idIjEE,"axG",@progbits,_ZN6thrust23THRUST_200600_302600_NS11hip_rocprim16__set_operations22lookback_set_op_kernelIN7rocprim17ROCPRIM_400000_NS13kernel_configILj256ELj16ELj4294967295EEELb0ENS0_6detail15normal_iteratorINS0_10device_ptrIKiEEEESD_PiSE_lNS9_INSA_IiEEEESE_NS0_4lessIiEENS2_31serial_set_symmetric_differenceENS5_6detail19lookback_scan_stateIlLb0ELb1EEEEEvT1_T2_T3_T4_T6_T7_T8_T9_PNS0_4pairIT5_SW_EEPSW_T10_NSK_16ordered_block_idIjEE,comdat
	.protected	_ZN6thrust23THRUST_200600_302600_NS11hip_rocprim16__set_operations22lookback_set_op_kernelIN7rocprim17ROCPRIM_400000_NS13kernel_configILj256ELj16ELj4294967295EEELb0ENS0_6detail15normal_iteratorINS0_10device_ptrIKiEEEESD_PiSE_lNS9_INSA_IiEEEESE_NS0_4lessIiEENS2_31serial_set_symmetric_differenceENS5_6detail19lookback_scan_stateIlLb0ELb1EEEEEvT1_T2_T3_T4_T6_T7_T8_T9_PNS0_4pairIT5_SW_EEPSW_T10_NSK_16ordered_block_idIjEE ; -- Begin function _ZN6thrust23THRUST_200600_302600_NS11hip_rocprim16__set_operations22lookback_set_op_kernelIN7rocprim17ROCPRIM_400000_NS13kernel_configILj256ELj16ELj4294967295EEELb0ENS0_6detail15normal_iteratorINS0_10device_ptrIKiEEEESD_PiSE_lNS9_INSA_IiEEEESE_NS0_4lessIiEENS2_31serial_set_symmetric_differenceENS5_6detail19lookback_scan_stateIlLb0ELb1EEEEEvT1_T2_T3_T4_T6_T7_T8_T9_PNS0_4pairIT5_SW_EEPSW_T10_NSK_16ordered_block_idIjEE
	.globl	_ZN6thrust23THRUST_200600_302600_NS11hip_rocprim16__set_operations22lookback_set_op_kernelIN7rocprim17ROCPRIM_400000_NS13kernel_configILj256ELj16ELj4294967295EEELb0ENS0_6detail15normal_iteratorINS0_10device_ptrIKiEEEESD_PiSE_lNS9_INSA_IiEEEESE_NS0_4lessIiEENS2_31serial_set_symmetric_differenceENS5_6detail19lookback_scan_stateIlLb0ELb1EEEEEvT1_T2_T3_T4_T6_T7_T8_T9_PNS0_4pairIT5_SW_EEPSW_T10_NSK_16ordered_block_idIjEE
	.p2align	8
	.type	_ZN6thrust23THRUST_200600_302600_NS11hip_rocprim16__set_operations22lookback_set_op_kernelIN7rocprim17ROCPRIM_400000_NS13kernel_configILj256ELj16ELj4294967295EEELb0ENS0_6detail15normal_iteratorINS0_10device_ptrIKiEEEESD_PiSE_lNS9_INSA_IiEEEESE_NS0_4lessIiEENS2_31serial_set_symmetric_differenceENS5_6detail19lookback_scan_stateIlLb0ELb1EEEEEvT1_T2_T3_T4_T6_T7_T8_T9_PNS0_4pairIT5_SW_EEPSW_T10_NSK_16ordered_block_idIjEE,@function
_ZN6thrust23THRUST_200600_302600_NS11hip_rocprim16__set_operations22lookback_set_op_kernelIN7rocprim17ROCPRIM_400000_NS13kernel_configILj256ELj16ELj4294967295EEELb0ENS0_6detail15normal_iteratorINS0_10device_ptrIKiEEEESD_PiSE_lNS9_INSA_IiEEEESE_NS0_4lessIiEENS2_31serial_set_symmetric_differenceENS5_6detail19lookback_scan_stateIlLb0ELb1EEEEEvT1_T2_T3_T4_T6_T7_T8_T9_PNS0_4pairIT5_SW_EEPSW_T10_NSK_16ordered_block_idIjEE: ; @_ZN6thrust23THRUST_200600_302600_NS11hip_rocprim16__set_operations22lookback_set_op_kernelIN7rocprim17ROCPRIM_400000_NS13kernel_configILj256ELj16ELj4294967295EEELb0ENS0_6detail15normal_iteratorINS0_10device_ptrIKiEEEESD_PiSE_lNS9_INSA_IiEEEESE_NS0_4lessIiEENS2_31serial_set_symmetric_differenceENS5_6detail19lookback_scan_stateIlLb0ELb1EEEEEvT1_T2_T3_T4_T6_T7_T8_T9_PNS0_4pairIT5_SW_EEPSW_T10_NSK_16ordered_block_idIjEE
; %bb.0:
	s_load_dword s2, s[0:1], 0x64
	s_load_dword s8, s[0:1], 0x58
	s_load_dwordx8 s[68:75], s[0:1], 0x38
	v_bfe_u32 v1, v0, 10, 10
	v_bfe_u32 v2, v0, 20, 10
	s_waitcnt lgkmcnt(0)
	s_lshr_b32 s3, s2, 16
	s_and_b32 s2, s2, 0xffff
	v_mad_u32_u24 v1, v2, s3, v1
	v_and_b32_e32 v16, 0x3ff, v0
	v_mul_lo_u32 v1, v1, s2
	v_sub_u32_e32 v0, 0, v16
	v_cmp_eq_u32_e32 vcc, v1, v0
	s_and_saveexec_b64 s[2:3], vcc
	s_cbranch_execz .LBB27_4
; %bb.1:
	s_mov_b64 s[6:7], exec
	v_mbcnt_lo_u32_b32 v0, s6, 0
	v_mbcnt_hi_u32_b32 v0, s7, v0
	v_cmp_eq_u32_e32 vcc, 0, v0
                                        ; implicit-def: $vgpr1
	s_and_saveexec_b64 s[4:5], vcc
	s_cbranch_execz .LBB27_3
; %bb.2:
	s_bcnt1_i32_b64 s6, s[6:7]
	v_mov_b32_e32 v1, 0
	v_mov_b32_e32 v2, s6
	global_atomic_add v1, v1, v2, s[74:75] sc0
.LBB27_3:
	s_or_b64 exec, exec, s[4:5]
	s_waitcnt vmcnt(0)
	v_readfirstlane_b32 s4, v1
	v_mov_b32_e32 v1, 0
	s_nop 0
	v_add_u32_e32 v0, s4, v0
	ds_write_b32 v1, v0 offset:36864
.LBB27_4:
	s_or_b64 exec, exec, s[2:3]
	v_mov_b32_e32 v0, 0
	s_waitcnt lgkmcnt(0)
	s_barrier
	ds_read_b32 v1, v0 offset:36864
	s_add_i32 s8, s8, -1
	s_waitcnt lgkmcnt(0)
	v_readfirstlane_b32 s74, v1
	s_ashr_i32 s75, s74, 31
	s_lshl_b64 s[2:3], s[74:75], 4
	s_add_u32 s2, s68, s2
	s_addc_u32 s3, s69, s3
	global_load_dwordx4 v[2:5], v0, s[2:3] offset:16
	global_load_dwordx4 v[6:9], v0, s[2:3]
	s_load_dwordx4 s[4:7], s[0:1], 0x0
	s_load_dwordx2 s[68:69], s[0:1], 0x20
	v_cmp_le_i32_e32 vcc, s8, v1
	s_and_b64 vcc, exec, vcc
	s_mov_b64 s[0:1], -1
	s_waitcnt vmcnt(0)
	v_sub_u32_e32 v26, v2, v6
	v_sub_u32_e32 v27, v4, v8
	v_lshlrev_b64 v[2:3], 2, v[6:7]
	v_lshlrev_b64 v[4:5], 2, v[8:9]
	s_waitcnt lgkmcnt(0)
	v_lshl_add_u64 v[20:21], s[4:5], 0, v[2:3]
	v_lshl_add_u64 v[18:19], s[6:7], 0, v[4:5]
	s_cbranch_vccz .LBB27_212
; %bb.5:
	v_add_u32_e32 v17, v27, v26
	v_cmp_lt_i32_e32 vcc, v16, v17
	v_mov_b32_e32 v1, v0
	v_mov_b32_e32 v2, v0
	;; [unrolled: 1-line block ×15, first 2 shown]
	s_and_saveexec_b64 s[0:1], vcc
	s_cbranch_execz .LBB27_7
; %bb.6:
	v_lshlrev_b32_e32 v0, 2, v16
	v_mov_b32_e32 v1, 0
	v_lshl_add_u64 v[2:3], v[20:21], 0, v[0:1]
	v_sub_u32_e32 v0, v16, v26
	v_lshl_add_u64 v[4:5], v[0:1], 2, v[18:19]
	v_cmp_lt_i32_e32 vcc, v16, v26
	v_mov_b32_e32 v6, v1
	v_mov_b32_e32 v7, v1
	v_cndmask_b32_e32 v3, v5, v3, vcc
	v_cndmask_b32_e32 v2, v4, v2, vcc
	global_load_dword v0, v[2:3], off
	v_mov_b32_e32 v2, v1
	v_mov_b32_e32 v3, v1
	v_mov_b32_e32 v4, v1
	v_mov_b32_e32 v5, v1
	v_mov_b32_e32 v8, v1
	v_mov_b32_e32 v9, v1
	v_mov_b32_e32 v10, v1
	v_mov_b32_e32 v11, v1
	v_mov_b32_e32 v12, v1
	v_mov_b32_e32 v13, v1
	v_mov_b32_e32 v14, v1
	v_mov_b32_e32 v15, v1
.LBB27_7:
	s_or_b64 exec, exec, s[0:1]
	v_add_u32_e32 v22, 0x100, v16
	v_cmp_lt_i32_e32 vcc, v22, v17
	s_and_saveexec_b64 s[0:1], vcc
	s_cbranch_execz .LBB27_9
; %bb.8:
	v_lshlrev_b32_e32 v24, 2, v16
	v_mov_b32_e32 v25, 0
	v_lshl_add_u64 v[28:29], v[20:21], 0, v[24:25]
	s_mov_b64 s[2:3], 0x400
	v_sub_u32_e32 v24, v22, v26
	v_lshl_add_u64 v[28:29], v[28:29], 0, s[2:3]
	v_lshl_add_u64 v[24:25], v[24:25], 2, v[18:19]
	v_cmp_lt_i32_e32 vcc, v22, v26
	s_nop 1
	v_cndmask_b32_e32 v23, v25, v29, vcc
	v_cndmask_b32_e32 v22, v24, v28, vcc
	global_load_dword v1, v[22:23], off
.LBB27_9:
	s_or_b64 exec, exec, s[0:1]
	v_add_u32_e32 v22, 0x200, v16
	v_cmp_lt_i32_e32 vcc, v22, v17
	s_and_saveexec_b64 s[0:1], vcc
	s_cbranch_execz .LBB27_11
; %bb.10:
	v_lshlrev_b32_e32 v24, 2, v16
	v_mov_b32_e32 v25, 0
	v_lshl_add_u64 v[28:29], v[20:21], 0, v[24:25]
	s_mov_b64 s[2:3], 0x800
	v_sub_u32_e32 v24, v22, v26
	v_lshl_add_u64 v[28:29], v[28:29], 0, s[2:3]
	v_lshl_add_u64 v[24:25], v[24:25], 2, v[18:19]
	v_cmp_lt_i32_e32 vcc, v22, v26
	s_nop 1
	v_cndmask_b32_e32 v23, v25, v29, vcc
	v_cndmask_b32_e32 v22, v24, v28, vcc
	global_load_dword v2, v[22:23], off
.LBB27_11:
	;; [unrolled: 19-line block ×3, first 2 shown]
	s_or_b64 exec, exec, s[0:1]
	v_or_b32_e32 v22, 0x400, v16
	v_cmp_lt_i32_e32 vcc, v22, v17
	s_and_saveexec_b64 s[0:1], vcc
	s_cbranch_execz .LBB27_15
; %bb.14:
	v_lshlrev_b32_e32 v24, 2, v22
	v_mov_b32_e32 v25, 0
	v_lshl_add_u64 v[28:29], v[20:21], 0, v[24:25]
	v_sub_u32_e32 v24, v22, v26
	v_lshl_add_u64 v[24:25], v[24:25], 2, v[18:19]
	v_cmp_lt_i32_e32 vcc, v22, v26
	s_nop 1
	v_cndmask_b32_e32 v23, v25, v29, vcc
	v_cndmask_b32_e32 v22, v24, v28, vcc
	global_load_dword v4, v[22:23], off
.LBB27_15:
	s_or_b64 exec, exec, s[0:1]
	v_add_u32_e32 v22, 0x500, v16
	v_cmp_lt_i32_e32 vcc, v22, v17
	s_and_saveexec_b64 s[0:1], vcc
	s_cbranch_execz .LBB27_17
; %bb.16:
	v_lshlrev_b32_e32 v24, 2, v22
	v_mov_b32_e32 v25, 0
	v_lshl_add_u64 v[28:29], v[20:21], 0, v[24:25]
	v_sub_u32_e32 v24, v22, v26
	v_lshl_add_u64 v[24:25], v[24:25], 2, v[18:19]
	v_cmp_lt_i32_e32 vcc, v22, v26
	s_nop 1
	v_cndmask_b32_e32 v23, v25, v29, vcc
	v_cndmask_b32_e32 v22, v24, v28, vcc
	global_load_dword v5, v[22:23], off
.LBB27_17:
	s_or_b64 exec, exec, s[0:1]
	v_add_u32_e32 v22, 0x600, v16
	;; [unrolled: 17-line block ×3, first 2 shown]
	v_cmp_lt_i32_e32 vcc, v22, v17
	s_and_saveexec_b64 s[0:1], vcc
	s_cbranch_execz .LBB27_21
; %bb.20:
	v_lshlrev_b32_e32 v24, 2, v22
	v_mov_b32_e32 v25, 0
	v_lshl_add_u64 v[28:29], v[20:21], 0, v[24:25]
	v_sub_u32_e32 v24, v22, v26
	v_lshl_add_u64 v[24:25], v[24:25], 2, v[18:19]
	v_cmp_lt_i32_e32 vcc, v22, v26
	s_nop 1
	v_cndmask_b32_e32 v23, v25, v29, vcc
	v_cndmask_b32_e32 v22, v24, v28, vcc
	global_load_dword v7, v[22:23], off
.LBB27_21:
	s_or_b64 exec, exec, s[0:1]
	v_or_b32_e32 v22, 0x800, v16
	v_cmp_lt_i32_e32 vcc, v22, v17
	s_and_saveexec_b64 s[0:1], vcc
	s_cbranch_execz .LBB27_23
; %bb.22:
	v_lshlrev_b32_e32 v24, 2, v22
	v_mov_b32_e32 v25, 0
	v_lshl_add_u64 v[28:29], v[20:21], 0, v[24:25]
	v_sub_u32_e32 v24, v22, v26
	v_lshl_add_u64 v[24:25], v[24:25], 2, v[18:19]
	v_cmp_lt_i32_e32 vcc, v22, v26
	s_nop 1
	v_cndmask_b32_e32 v23, v25, v29, vcc
	v_cndmask_b32_e32 v22, v24, v28, vcc
	global_load_dword v8, v[22:23], off
.LBB27_23:
	s_or_b64 exec, exec, s[0:1]
	v_add_u32_e32 v22, 0x900, v16
	v_cmp_lt_i32_e32 vcc, v22, v17
	s_and_saveexec_b64 s[0:1], vcc
	s_cbranch_execz .LBB27_25
; %bb.24:
	v_lshlrev_b32_e32 v24, 2, v22
	v_mov_b32_e32 v25, 0
	v_lshl_add_u64 v[28:29], v[20:21], 0, v[24:25]
	v_sub_u32_e32 v24, v22, v26
	v_lshl_add_u64 v[24:25], v[24:25], 2, v[18:19]
	v_cmp_lt_i32_e32 vcc, v22, v26
	s_nop 1
	v_cndmask_b32_e32 v23, v25, v29, vcc
	v_cndmask_b32_e32 v22, v24, v28, vcc
	global_load_dword v9, v[22:23], off
.LBB27_25:
	s_or_b64 exec, exec, s[0:1]
	v_add_u32_e32 v22, 0xa00, v16
	;; [unrolled: 17-line block ×3, first 2 shown]
	v_cmp_lt_i32_e32 vcc, v22, v17
	s_and_saveexec_b64 s[0:1], vcc
	s_cbranch_execz .LBB27_29
; %bb.28:
	v_lshlrev_b32_e32 v24, 2, v22
	v_mov_b32_e32 v25, 0
	v_lshl_add_u64 v[28:29], v[20:21], 0, v[24:25]
	v_sub_u32_e32 v24, v22, v26
	v_lshl_add_u64 v[24:25], v[24:25], 2, v[18:19]
	v_cmp_lt_i32_e32 vcc, v22, v26
	s_nop 1
	v_cndmask_b32_e32 v23, v25, v29, vcc
	v_cndmask_b32_e32 v22, v24, v28, vcc
	global_load_dword v11, v[22:23], off
.LBB27_29:
	s_or_b64 exec, exec, s[0:1]
	v_or_b32_e32 v22, 0xc00, v16
	v_cmp_lt_i32_e32 vcc, v22, v17
	s_and_saveexec_b64 s[0:1], vcc
	s_cbranch_execz .LBB27_31
; %bb.30:
	v_lshlrev_b32_e32 v24, 2, v22
	v_mov_b32_e32 v25, 0
	v_lshl_add_u64 v[28:29], v[20:21], 0, v[24:25]
	v_sub_u32_e32 v24, v22, v26
	v_lshl_add_u64 v[24:25], v[24:25], 2, v[18:19]
	v_cmp_lt_i32_e32 vcc, v22, v26
	s_nop 1
	v_cndmask_b32_e32 v23, v25, v29, vcc
	v_cndmask_b32_e32 v22, v24, v28, vcc
	global_load_dword v12, v[22:23], off
.LBB27_31:
	s_or_b64 exec, exec, s[0:1]
	v_add_u32_e32 v22, 0xd00, v16
	v_cmp_lt_i32_e32 vcc, v22, v17
	s_and_saveexec_b64 s[0:1], vcc
	s_cbranch_execz .LBB27_33
; %bb.32:
	v_lshlrev_b32_e32 v24, 2, v22
	v_mov_b32_e32 v25, 0
	v_lshl_add_u64 v[28:29], v[20:21], 0, v[24:25]
	v_sub_u32_e32 v24, v22, v26
	v_lshl_add_u64 v[24:25], v[24:25], 2, v[18:19]
	v_cmp_lt_i32_e32 vcc, v22, v26
	s_nop 1
	v_cndmask_b32_e32 v23, v25, v29, vcc
	v_cndmask_b32_e32 v22, v24, v28, vcc
	global_load_dword v13, v[22:23], off
.LBB27_33:
	s_or_b64 exec, exec, s[0:1]
	v_add_u32_e32 v22, 0xe00, v16
	;; [unrolled: 17-line block ×3, first 2 shown]
	v_cmp_lt_i32_e32 vcc, v22, v17
	s_and_saveexec_b64 s[0:1], vcc
	s_cbranch_execz .LBB27_37
; %bb.36:
	v_lshlrev_b32_e32 v24, 2, v22
	v_mov_b32_e32 v25, 0
	v_lshl_add_u64 v[28:29], v[20:21], 0, v[24:25]
	v_sub_u32_e32 v24, v22, v26
	v_lshl_add_u64 v[24:25], v[24:25], 2, v[18:19]
	v_cmp_lt_i32_e32 vcc, v22, v26
	s_nop 1
	v_cndmask_b32_e32 v23, v25, v29, vcc
	v_cndmask_b32_e32 v22, v24, v28, vcc
	global_load_dword v15, v[22:23], off
.LBB27_37:
	s_or_b64 exec, exec, s[0:1]
	v_lshlrev_b32_e32 v22, 2, v16
	s_waitcnt vmcnt(0)
	ds_write2st64_b32 v22, v2, v3 offset0:84 offset1:88
	ds_write2st64_b32 v22, v4, v5 offset0:92 offset1:96
	;; [unrolled: 1-line block ×8, first 2 shown]
	v_lshlrev_b32_e32 v0, 4, v16
	v_min_i32_e32 v1, v17, v0
	v_lshlrev_b32_e32 v0, 2, v26
	v_add_u32_e32 v2, 0x4800, v0
	v_sub_u32_e32 v0, v1, v27
	v_max_i32_e32 v0, 0, v0
	v_min_i32_e32 v3, v26, v1
	v_cmp_lt_i32_e32 vcc, v0, v3
	s_waitcnt lgkmcnt(0)
	s_barrier
	s_and_saveexec_b64 s[0:1], vcc
	s_cbranch_execz .LBB27_41
; %bb.38:
	v_lshl_add_u32 v4, v1, 2, v2
	v_add_u32_e32 v4, 0x400, v4
	s_mov_b64 s[2:3], 0
.LBB27_39:                              ; =>This Inner Loop Header: Depth=1
	v_add_u32_e32 v5, v3, v0
	v_lshrrev_b32_e32 v5, 1, v5
	v_not_b32_e32 v7, v5
	v_lshlrev_b32_e32 v6, 2, v5
	v_lshl_add_u32 v7, v7, 2, v4
	ds_read_b32 v6, v6 offset:19456
	ds_read_b32 v7, v7
	v_add_u32_e32 v8, 1, v5
	s_waitcnt lgkmcnt(0)
	v_cmp_lt_i32_e32 vcc, v7, v6
	s_nop 1
	v_cndmask_b32_e32 v3, v3, v5, vcc
	v_cndmask_b32_e32 v0, v8, v0, vcc
	v_cmp_ge_i32_e32 vcc, v0, v3
	s_or_b64 s[2:3], vcc, s[2:3]
	s_andn2_b64 exec, exec, s[2:3]
	s_cbranch_execnz .LBB27_39
; %bb.40:
	s_or_b64 exec, exec, s[2:3]
.LBB27_41:
	s_or_b64 exec, exec, s[0:1]
	v_sub_u32_e32 v7, v1, v0
	v_add_u32_e32 v3, 0x4800, v22
	v_cmp_lt_i32_e32 vcc, v7, v27
	v_mov_b32_e32 v5, 0
	s_and_saveexec_b64 s[2:3], vcc
	s_cbranch_execz .LBB27_71
; %bb.42:
	v_lshl_add_u32 v5, v7, 2, v2
	ds_read_b32 v6, v5 offset:1024
	v_mov_b32_e32 v4, 0
	v_cmp_lt_i32_e32 vcc, 0, v0
	v_mov_b32_e32 v8, 0
	s_and_saveexec_b64 s[0:1], vcc
	s_cbranch_execnz .LBB27_47
; %bb.43:
	s_or_b64 exec, exec, s[0:1]
	v_cmp_lt_i32_e32 vcc, v4, v8
	s_and_saveexec_b64 s[0:1], vcc
	s_cbranch_execnz .LBB27_48
.LBB27_44:
	s_or_b64 exec, exec, s[0:1]
	v_cmp_lt_i32_e32 vcc, v4, v8
	s_and_saveexec_b64 s[0:1], vcc
	s_cbranch_execnz .LBB27_49
.LBB27_45:
	s_or_b64 exec, exec, s[0:1]
	v_cmp_lt_i32_e32 vcc, v4, v8
	s_and_saveexec_b64 s[0:1], vcc
	s_cbranch_execnz .LBB27_50
.LBB27_46:
	s_or_b64 exec, exec, s[0:1]
	v_cmp_lt_i32_e32 vcc, v4, v8
	s_and_saveexec_b64 s[0:1], vcc
	s_cbranch_execnz .LBB27_51
	s_branch .LBB27_54
.LBB27_47:
	s_movk_i32 s4, 0x1ff
	v_mul_lo_u32 v4, v0, s4
	v_ashrrev_i32_e32 v8, 9, v4
	v_lshlrev_b32_e32 v4, 2, v8
	ds_read_b32 v4, v4 offset:19456
	v_add_u32_e32 v9, 1, v8
	s_waitcnt lgkmcnt(0)
	v_cmp_lt_i32_e32 vcc, v4, v6
	s_nop 1
	v_cndmask_b32_e32 v4, 0, v9, vcc
	v_cndmask_b32_e32 v8, v8, v0, vcc
	s_or_b64 exec, exec, s[0:1]
	v_cmp_lt_i32_e32 vcc, v4, v8
	s_and_saveexec_b64 s[0:1], vcc
	s_cbranch_execz .LBB27_44
.LBB27_48:
	v_sub_u32_e32 v9, v4, v8
	v_lshl_add_u32 v9, v8, 7, v9
	v_ashrrev_i32_e32 v9, 7, v9
	v_lshlrev_b32_e32 v10, 2, v9
	ds_read_b32 v10, v10 offset:19456
	v_add_u32_e32 v11, 1, v9
	s_waitcnt lgkmcnt(0)
	v_cmp_lt_i32_e32 vcc, v10, v6
	s_nop 1
	v_cndmask_b32_e32 v4, v4, v11, vcc
	v_cndmask_b32_e32 v8, v9, v8, vcc
	s_or_b64 exec, exec, s[0:1]
	v_cmp_lt_i32_e32 vcc, v4, v8
	s_and_saveexec_b64 s[0:1], vcc
	s_cbranch_execz .LBB27_45
.LBB27_49:
	v_sub_u32_e32 v9, v4, v8
	v_lshl_add_u32 v9, v8, 5, v9
	v_ashrrev_i32_e32 v9, 5, v9
	v_lshlrev_b32_e32 v10, 2, v9
	ds_read_b32 v10, v10 offset:19456
	v_add_u32_e32 v11, 1, v9
	s_waitcnt lgkmcnt(0)
	v_cmp_lt_i32_e32 vcc, v10, v6
	s_nop 1
	v_cndmask_b32_e32 v4, v4, v11, vcc
	v_cndmask_b32_e32 v8, v9, v8, vcc
	s_or_b64 exec, exec, s[0:1]
	v_cmp_lt_i32_e32 vcc, v4, v8
	s_and_saveexec_b64 s[0:1], vcc
	s_cbranch_execz .LBB27_46
.LBB27_50:
	v_sub_u32_e32 v9, v4, v8
	v_lshl_add_u32 v9, v8, 4, v9
	v_ashrrev_i32_e32 v9, 4, v9
	v_lshlrev_b32_e32 v10, 2, v9
	ds_read_b32 v10, v10 offset:19456
	v_add_u32_e32 v11, 1, v9
	s_waitcnt lgkmcnt(0)
	v_cmp_lt_i32_e32 vcc, v10, v6
	s_nop 1
	v_cndmask_b32_e32 v4, v4, v11, vcc
	v_cndmask_b32_e32 v8, v9, v8, vcc
	s_or_b64 exec, exec, s[0:1]
	v_cmp_lt_i32_e32 vcc, v4, v8
	s_and_saveexec_b64 s[0:1], vcc
	s_cbranch_execz .LBB27_54
.LBB27_51:
	s_mov_b64 s[4:5], 0
.LBB27_52:                              ; =>This Inner Loop Header: Depth=1
	v_sub_u32_e32 v9, v4, v8
	v_lshl_add_u32 v9, v8, 1, v9
	v_ashrrev_i32_e32 v9, 1, v9
	v_lshlrev_b32_e32 v10, 2, v9
	ds_read_b32 v10, v10 offset:19456
	v_add_u32_e32 v11, 1, v9
	s_waitcnt lgkmcnt(0)
	v_cmp_lt_i32_e32 vcc, v10, v6
	s_nop 1
	v_cndmask_b32_e32 v4, v4, v11, vcc
	v_cndmask_b32_e32 v8, v9, v8, vcc
	v_cmp_ge_i32_e32 vcc, v4, v8
	s_or_b64 s[4:5], vcc, s[4:5]
	s_andn2_b64 exec, exec, s[4:5]
	s_cbranch_execnz .LBB27_52
; %bb.53:
	s_or_b64 exec, exec, s[4:5]
.LBB27_54:
	s_or_b64 exec, exec, s[0:1]
	v_mov_b32_e32 v8, 0
	v_cmp_lt_i32_e32 vcc, 0, v7
	v_mov_b32_e32 v9, v7
	s_and_saveexec_b64 s[0:1], vcc
	s_cbranch_execnz .LBB27_59
; %bb.55:
	s_or_b64 exec, exec, s[0:1]
	v_cmp_lt_i32_e32 vcc, v8, v9
	s_and_saveexec_b64 s[0:1], vcc
	s_cbranch_execnz .LBB27_60
.LBB27_56:
	s_or_b64 exec, exec, s[0:1]
	v_cmp_lt_i32_e32 vcc, v8, v9
	s_and_saveexec_b64 s[0:1], vcc
	s_cbranch_execnz .LBB27_61
.LBB27_57:
	s_or_b64 exec, exec, s[0:1]
	v_cmp_lt_i32_e32 vcc, v8, v9
	s_and_saveexec_b64 s[0:1], vcc
	s_cbranch_execnz .LBB27_62
.LBB27_58:
	s_or_b64 exec, exec, s[0:1]
	v_cmp_lt_i32_e32 vcc, v8, v9
	s_and_saveexec_b64 s[0:1], vcc
	s_cbranch_execnz .LBB27_63
	s_branch .LBB27_66
.LBB27_59:
	s_movk_i32 s4, 0x1ff
	v_mul_lo_u32 v8, v7, s4
	v_lshrrev_b32_e32 v9, 9, v8
	v_lshl_add_u32 v8, v9, 2, v2
	ds_read_b32 v8, v8 offset:1024
	v_add_u32_e32 v10, 1, v9
	s_waitcnt lgkmcnt(0)
	v_cmp_lt_i32_e32 vcc, v8, v6
	s_nop 1
	v_cndmask_b32_e32 v8, 0, v10, vcc
	v_cndmask_b32_e32 v9, v9, v7, vcc
	s_or_b64 exec, exec, s[0:1]
	v_cmp_lt_i32_e32 vcc, v8, v9
	s_and_saveexec_b64 s[0:1], vcc
	s_cbranch_execz .LBB27_56
.LBB27_60:
	v_sub_u32_e32 v10, v8, v9
	v_lshl_add_u32 v10, v9, 7, v10
	v_ashrrev_i32_e32 v10, 7, v10
	v_lshl_add_u32 v11, v10, 2, v2
	ds_read_b32 v11, v11 offset:1024
	v_add_u32_e32 v12, 1, v10
	s_waitcnt lgkmcnt(0)
	v_cmp_lt_i32_e32 vcc, v11, v6
	s_nop 1
	v_cndmask_b32_e32 v8, v8, v12, vcc
	v_cndmask_b32_e32 v9, v10, v9, vcc
	s_or_b64 exec, exec, s[0:1]
	v_cmp_lt_i32_e32 vcc, v8, v9
	s_and_saveexec_b64 s[0:1], vcc
	s_cbranch_execz .LBB27_57
.LBB27_61:
	v_sub_u32_e32 v10, v8, v9
	v_lshl_add_u32 v10, v9, 5, v10
	v_ashrrev_i32_e32 v10, 5, v10
	v_lshl_add_u32 v11, v10, 2, v2
	ds_read_b32 v11, v11 offset:1024
	v_add_u32_e32 v12, 1, v10
	s_waitcnt lgkmcnt(0)
	v_cmp_lt_i32_e32 vcc, v11, v6
	s_nop 1
	v_cndmask_b32_e32 v8, v8, v12, vcc
	v_cndmask_b32_e32 v9, v10, v9, vcc
	s_or_b64 exec, exec, s[0:1]
	v_cmp_lt_i32_e32 vcc, v8, v9
	s_and_saveexec_b64 s[0:1], vcc
	s_cbranch_execz .LBB27_58
.LBB27_62:
	v_sub_u32_e32 v10, v8, v9
	v_lshl_add_u32 v10, v9, 4, v10
	v_ashrrev_i32_e32 v10, 4, v10
	v_lshl_add_u32 v11, v10, 2, v2
	ds_read_b32 v11, v11 offset:1024
	v_add_u32_e32 v12, 1, v10
	s_waitcnt lgkmcnt(0)
	v_cmp_lt_i32_e32 vcc, v11, v6
	s_nop 1
	v_cndmask_b32_e32 v8, v8, v12, vcc
	v_cndmask_b32_e32 v9, v10, v9, vcc
	s_or_b64 exec, exec, s[0:1]
	v_cmp_lt_i32_e32 vcc, v8, v9
	s_and_saveexec_b64 s[0:1], vcc
	s_cbranch_execz .LBB27_66
.LBB27_63:
	s_mov_b64 s[4:5], 0
.LBB27_64:                              ; =>This Inner Loop Header: Depth=1
	v_sub_u32_e32 v10, v8, v9
	v_lshl_add_u32 v10, v9, 1, v10
	v_ashrrev_i32_e32 v10, 1, v10
	v_lshl_add_u32 v11, v10, 2, v2
	ds_read_b32 v11, v11 offset:1024
	v_add_u32_e32 v12, 1, v10
	s_waitcnt lgkmcnt(0)
	v_cmp_lt_i32_e32 vcc, v11, v6
	s_nop 1
	v_cndmask_b32_e32 v8, v8, v12, vcc
	v_cndmask_b32_e32 v9, v10, v9, vcc
	v_cmp_ge_i32_e32 vcc, v8, v9
	s_or_b64 s[4:5], vcc, s[4:5]
	s_andn2_b64 exec, exec, s[4:5]
	s_cbranch_execnz .LBB27_64
; %bb.65:
	s_or_b64 exec, exec, s[4:5]
.LBB27_66:
	s_or_b64 exec, exec, s[0:1]
	v_sub_u32_e32 v0, v0, v4
	v_sub_u32_e32 v9, v7, v8
	v_add_u32_e32 v2, v9, v0
	v_ashrrev_i32_e32 v0, 1, v2
	v_max_i32_e32 v0, v0, v9
	v_add3_u32 v8, v8, v0, 1
	v_min_i32_e32 v8, v8, v27
	v_sub_u32_e32 v8, v8, v7
	v_mov_b32_e32 v7, 0
	v_cmp_lt_i32_e32 vcc, 0, v8
	s_and_saveexec_b64 s[0:1], vcc
	s_cbranch_execz .LBB27_70
; %bb.67:
	v_mov_b32_e32 v7, 0
	s_mov_b64 s[4:5], 0
.LBB27_68:                              ; =>This Inner Loop Header: Depth=1
	v_add_u32_e32 v10, v7, v8
	v_lshrrev_b32_e32 v10, 1, v10
	v_lshl_add_u32 v11, v10, 2, v5
	ds_read_b32 v11, v11 offset:1024
	v_add_u32_e32 v12, 1, v10
	s_waitcnt lgkmcnt(0)
	v_cmp_lt_i32_e32 vcc, v6, v11
	s_nop 1
	v_cndmask_b32_e32 v7, v12, v7, vcc
	v_cndmask_b32_e32 v8, v8, v10, vcc
	v_cmp_ge_i32_e32 vcc, v7, v8
	s_or_b64 s[4:5], vcc, s[4:5]
	s_andn2_b64 exec, exec, s[4:5]
	s_cbranch_execnz .LBB27_68
; %bb.69:
	s_or_b64 exec, exec, s[4:5]
.LBB27_70:
	s_or_b64 exec, exec, s[0:1]
	v_add_u32_e32 v5, v7, v9
	s_waitcnt lgkmcnt(0)
	v_min_i32_e32 v6, v5, v0
	v_sub_u32_e32 v2, v2, v6
	v_add_u32_e32 v6, 1, v6
	v_cmp_eq_u32_e32 vcc, v2, v6
	v_cmp_lt_i32_e64 s[0:1], v0, v5
	s_and_b64 s[0:1], s[0:1], vcc
	v_add_u32_e32 v0, v2, v4
	v_cndmask_b32_e64 v5, 0, 1, s[0:1]
.LBB27_71:
	s_or_b64 exec, exec, s[2:3]
	v_add_u32_e32 v1, v5, v1
	v_sub_u32_e32 v7, v1, v0
	v_lshlrev_b32_e32 v2, 16, v26
	v_or_b32_e32 v2, v2, v27
	v_lshl_or_b32 v4, v0, 16, v7
	v_subrev_co_u32_e64 v5, s[0:1], 1, v16
	v_lshlrev_b32_e32 v6, 2, v0
	s_nop 0
	v_cndmask_b32_e64 v2, v4, v2, s[0:1]
	v_mov_b32_e32 v4, 0xff
	v_cndmask_b32_e64 v4, v5, v4, s[0:1]
	v_lshlrev_b32_e32 v4, 2, v4
	ds_write_b32 v4, v2 offset:18432
	v_add_u32_e32 v2, v7, v26
	s_waitcnt lgkmcnt(0)
	s_barrier
	v_lshlrev_b32_e32 v5, 2, v2
	ds_read_b32 v4, v3
	ds_read_b32 v17, v6 offset:19456
	ds_read_b32 v28, v5 offset:19456
	s_waitcnt lgkmcnt(2)
	v_cmp_le_i32_sdwa s[6:7], v4, v7 src0_sel:WORD_0 src1_sel:DWORD
	v_cmp_le_i32_sdwa s[4:5], sext(v4), v0 src0_sel:WORD_1 src1_sel:DWORD
	s_waitcnt lgkmcnt(0)
	v_cmp_lt_i32_e32 vcc, v28, v17
	s_or_b64 s[2:3], s[4:5], s[6:7]
	v_cndmask_b32_e64 v7, 0, 1, s[4:5]
	v_cndmask_b32_e64 v3, 0, 1, vcc
	v_cndmask_b32_e64 v3, v3, v7, s[2:3]
	v_and_b32_e32 v3, 1, v3
	v_cmp_eq_u32_e32 vcc, 1, v3
	s_xor_b64 s[10:11], vcc, -1
	v_mov_b32_e32 v29, v17
	s_and_saveexec_b64 s[8:9], s[10:11]
; %bb.72:
	v_add_u32_e32 v3, 0x4800, v6
	ds_read_b32 v29, v3 offset:1028
	v_add_u32_e32 v0, 1, v0
; %bb.73:
	s_or_b64 exec, exec, s[8:9]
	s_xor_b64 s[8:9], s[4:5], -1
	v_cmp_lt_i32_e64 s[4:5], v17, v28
	v_mov_b32_e32 v30, v28
	s_nop 0
	v_cndmask_b32_e64 v3, 0, 1, s[4:5]
	s_and_b64 s[4:5], s[6:7], s[8:9]
	v_cndmask_b32_e64 v6, 0, 1, s[4:5]
	v_cndmask_b32_e64 v3, v3, v6, s[2:3]
	v_and_b32_e32 v3, 1, v3
	v_cmp_eq_u32_e64 s[2:3], 1, v3
	s_xor_b64 s[6:7], s[2:3], -1
	s_and_saveexec_b64 s[4:5], s[6:7]
; %bb.74:
	v_add_u32_e32 v3, 0x4800, v5
	ds_read_b32 v30, v3 offset:1028
	v_add_u32_e32 v2, 1, v2
; %bb.75:
	s_or_b64 exec, exec, s[4:5]
	v_add_u32_sdwa v7, v4, v26 dst_sel:DWORD dst_unused:UNUSED_PAD src0_sel:WORD_0 src1_sel:DWORD
	v_cmp_ge_i32_e64 s[4:5], v2, v7
	v_cmp_ge_i32_sdwa s[8:9], v0, sext(v4) src0_sel:DWORD src1_sel:WORD_1
	s_waitcnt lgkmcnt(0)
	v_cmp_lt_i32_e64 s[6:7], v30, v29
	v_mov_b32_e32 v31, v29
	v_cndmask_b32_e64 v3, 0, 1, s[8:9]
	v_cndmask_b32_e64 v5, 0, 1, s[6:7]
	s_or_b64 s[6:7], s[8:9], s[4:5]
	v_cndmask_b32_e64 v3, v5, v3, s[6:7]
	v_and_b32_e32 v3, 1, v3
	v_cmp_eq_u32_e64 s[36:37], 1, v3
	s_xor_b64 s[10:11], s[36:37], -1
	v_mov_b32_e32 v3, v0
	s_and_saveexec_b64 s[6:7], s[10:11]
; %bb.76:
	v_lshlrev_b32_e32 v3, 2, v0
	ds_read_b32 v31, v3 offset:19460
	v_add_u32_e32 v3, 1, v0
; %bb.77:
	s_or_b64 exec, exec, s[6:7]
	v_cmp_lt_i32_e64 s[6:7], v29, v30
	s_or_b64 s[4:5], s[4:5], s[6:7]
	s_xor_b64 s[6:7], s[8:9], -1
	s_and_b64 s[4:5], s[6:7], s[4:5]
	s_xor_b64 s[8:9], s[4:5], -1
	v_mov_b32_e32 v32, v30
	v_mov_b32_e32 v5, v2
	s_and_saveexec_b64 s[6:7], s[8:9]
; %bb.78:
	v_lshlrev_b32_e32 v5, 2, v2
	ds_read_b32 v32, v5 offset:19460
	v_add_u32_e32 v5, 1, v2
; %bb.79:
	s_or_b64 exec, exec, s[6:7]
	v_cmp_ge_i32_e64 s[6:7], v5, v7
	v_cmp_ge_i32_sdwa s[10:11], v3, sext(v4) src0_sel:DWORD src1_sel:WORD_1
	s_waitcnt lgkmcnt(0)
	v_cmp_lt_i32_e64 s[8:9], v32, v31
	v_mov_b32_e32 v33, v31
	v_cndmask_b32_e64 v6, 0, 1, s[10:11]
	v_cndmask_b32_e64 v8, 0, 1, s[8:9]
	s_or_b64 s[8:9], s[10:11], s[6:7]
	v_cndmask_b32_e64 v6, v8, v6, s[8:9]
	v_and_b32_e32 v6, 1, v6
	v_cmp_eq_u32_e64 s[38:39], 1, v6
	s_xor_b64 s[12:13], s[38:39], -1
	v_mov_b32_e32 v6, v3
	s_and_saveexec_b64 s[8:9], s[12:13]
; %bb.80:
	v_lshlrev_b32_e32 v6, 2, v3
	ds_read_b32 v33, v6 offset:19460
	v_add_u32_e32 v6, 1, v3
; %bb.81:
	s_or_b64 exec, exec, s[8:9]
	v_cmp_lt_i32_e64 s[8:9], v31, v32
	s_or_b64 s[6:7], s[6:7], s[8:9]
	s_xor_b64 s[8:9], s[10:11], -1
	s_and_b64 s[6:7], s[8:9], s[6:7]
	s_xor_b64 s[10:11], s[6:7], -1
	v_mov_b32_e32 v34, v32
	v_mov_b32_e32 v8, v5
	s_and_saveexec_b64 s[8:9], s[10:11]
; %bb.82:
	v_lshlrev_b32_e32 v8, 2, v5
	ds_read_b32 v34, v8 offset:19460
	v_add_u32_e32 v8, 1, v5
; %bb.83:
	s_or_b64 exec, exec, s[8:9]
	;; [unrolled: 34-line block ×7, first 2 shown]
	v_cmp_ge_i32_e64 s[18:19], v24, v7
	v_cmp_ge_i32_sdwa s[22:23], v23, sext(v4) src0_sel:DWORD src1_sel:WORD_1
	s_waitcnt lgkmcnt(0)
	v_cmp_lt_i32_e64 s[20:21], v44, v43
	v_cndmask_b32_e64 v25, 0, 1, s[22:23]
	s_nop 0
	v_cndmask_b32_e64 v45, 0, 1, s[20:21]
	s_or_b64 s[20:21], s[22:23], s[18:19]
	v_cndmask_b32_e64 v25, v45, v25, s[20:21]
	v_and_b32_e32 v25, 1, v25
	v_cmp_eq_u32_e64 s[50:51], 1, v25
	s_xor_b64 s[24:25], s[50:51], -1
	v_mov_b32_e32 v45, v43
	v_mov_b32_e32 v25, v23
	s_and_saveexec_b64 s[20:21], s[24:25]
; %bb.104:
	v_lshlrev_b32_e32 v25, 2, v23
	ds_read_b32 v45, v25 offset:19460
	v_add_u32_e32 v25, 1, v23
; %bb.105:
	s_or_b64 exec, exec, s[20:21]
	v_cmp_lt_i32_e64 s[20:21], v43, v44
	s_or_b64 s[18:19], s[18:19], s[20:21]
	s_xor_b64 s[20:21], s[22:23], -1
	s_and_b64 s[18:19], s[20:21], s[18:19]
	s_xor_b64 s[22:23], s[18:19], -1
	v_mov_b32_e32 v46, v44
	v_mov_b32_e32 v59, v24
	s_and_saveexec_b64 s[20:21], s[22:23]
; %bb.106:
	v_lshlrev_b32_e32 v46, 2, v24
	ds_read_b32 v46, v46 offset:19460
	v_add_u32_e32 v59, 1, v24
; %bb.107:
	s_or_b64 exec, exec, s[20:21]
	v_cmp_ge_i32_e64 s[20:21], v59, v7
	v_cmp_ge_i32_sdwa s[24:25], v25, sext(v4) src0_sel:DWORD src1_sel:WORD_1
	s_waitcnt lgkmcnt(0)
	v_cmp_lt_i32_e64 s[22:23], v46, v45
	v_mov_b32_e32 v60, v25
	v_cndmask_b32_e64 v47, 0, 1, s[24:25]
	v_cndmask_b32_e64 v48, 0, 1, s[22:23]
	s_or_b64 s[22:23], s[24:25], s[20:21]
	v_cndmask_b32_e64 v47, v48, v47, s[22:23]
	v_and_b32_e32 v47, 1, v47
	v_cmp_eq_u32_e64 s[52:53], 1, v47
	s_xor_b64 s[26:27], s[52:53], -1
	v_mov_b32_e32 v47, v45
	s_and_saveexec_b64 s[22:23], s[26:27]
; %bb.108:
	v_lshlrev_b32_e32 v47, 2, v25
	ds_read_b32 v47, v47 offset:19460
	v_add_u32_e32 v60, 1, v25
; %bb.109:
	s_or_b64 exec, exec, s[22:23]
	v_cmp_lt_i32_e64 s[22:23], v45, v46
	s_or_b64 s[20:21], s[20:21], s[22:23]
	s_xor_b64 s[22:23], s[24:25], -1
	s_and_b64 s[20:21], s[22:23], s[20:21]
	s_xor_b64 s[24:25], s[20:21], -1
	v_mov_b32_e32 v48, v46
	v_mov_b32_e32 v61, v59
	s_and_saveexec_b64 s[22:23], s[24:25]
; %bb.110:
	v_lshlrev_b32_e32 v48, 2, v59
	ds_read_b32 v48, v48 offset:19460
	v_add_u32_e32 v61, 1, v59
; %bb.111:
	s_or_b64 exec, exec, s[22:23]
	v_cmp_ge_i32_e64 s[22:23], v61, v7
	v_cmp_ge_i32_sdwa s[26:27], v60, sext(v4) src0_sel:DWORD src1_sel:WORD_1
	s_waitcnt lgkmcnt(0)
	v_cmp_lt_i32_e64 s[24:25], v48, v47
	v_mov_b32_e32 v62, v60
	v_cndmask_b32_e64 v49, 0, 1, s[26:27]
	v_cndmask_b32_e64 v50, 0, 1, s[24:25]
	s_or_b64 s[24:25], s[26:27], s[22:23]
	v_cndmask_b32_e64 v49, v50, v49, s[24:25]
	v_and_b32_e32 v49, 1, v49
	v_cmp_eq_u32_e64 s[54:55], 1, v49
	s_xor_b64 s[28:29], s[54:55], -1
	v_mov_b32_e32 v49, v47
	s_and_saveexec_b64 s[24:25], s[28:29]
; %bb.112:
	v_lshlrev_b32_e32 v49, 2, v60
	ds_read_b32 v49, v49 offset:19460
	v_add_u32_e32 v62, 1, v60
; %bb.113:
	s_or_b64 exec, exec, s[24:25]
	v_cmp_lt_i32_e64 s[24:25], v47, v48
	s_or_b64 s[22:23], s[22:23], s[24:25]
	s_xor_b64 s[24:25], s[26:27], -1
	s_and_b64 s[22:23], s[24:25], s[22:23]
	s_xor_b64 s[26:27], s[22:23], -1
	v_mov_b32_e32 v50, v48
	v_mov_b32_e32 v63, v61
	s_and_saveexec_b64 s[24:25], s[26:27]
; %bb.114:
	v_lshlrev_b32_e32 v50, 2, v61
	ds_read_b32 v50, v50 offset:19460
	v_add_u32_e32 v63, 1, v61
; %bb.115:
	s_or_b64 exec, exec, s[24:25]
	v_cmp_ge_i32_e64 s[24:25], v63, v7
	v_cmp_ge_i32_sdwa s[28:29], v62, sext(v4) src0_sel:DWORD src1_sel:WORD_1
	s_waitcnt lgkmcnt(0)
	v_cmp_lt_i32_e64 s[26:27], v50, v49
	v_mov_b32_e32 v64, v62
	v_cndmask_b32_e64 v51, 0, 1, s[28:29]
	v_cndmask_b32_e64 v52, 0, 1, s[26:27]
	s_or_b64 s[26:27], s[28:29], s[24:25]
	v_cndmask_b32_e64 v51, v52, v51, s[26:27]
	v_and_b32_e32 v51, 1, v51
	v_cmp_eq_u32_e64 s[56:57], 1, v51
	s_xor_b64 s[30:31], s[56:57], -1
	v_mov_b32_e32 v51, v49
	s_and_saveexec_b64 s[26:27], s[30:31]
; %bb.116:
	v_lshlrev_b32_e32 v51, 2, v62
	ds_read_b32 v51, v51 offset:19460
	v_add_u32_e32 v64, 1, v62
; %bb.117:
	s_or_b64 exec, exec, s[26:27]
	v_cmp_lt_i32_e64 s[26:27], v49, v50
	s_or_b64 s[24:25], s[24:25], s[26:27]
	s_xor_b64 s[26:27], s[28:29], -1
	s_and_b64 s[24:25], s[26:27], s[24:25]
	s_xor_b64 s[28:29], s[24:25], -1
	v_mov_b32_e32 v52, v50
	v_mov_b32_e32 v65, v63
	s_and_saveexec_b64 s[26:27], s[28:29]
; %bb.118:
	v_lshlrev_b32_e32 v52, 2, v63
	ds_read_b32 v52, v52 offset:19460
	v_add_u32_e32 v65, 1, v63
; %bb.119:
	s_or_b64 exec, exec, s[26:27]
	v_cmp_ge_i32_e64 s[26:27], v65, v7
	v_cmp_ge_i32_sdwa s[30:31], v64, sext(v4) src0_sel:DWORD src1_sel:WORD_1
	s_waitcnt lgkmcnt(0)
	v_cmp_lt_i32_e64 s[28:29], v52, v51
	v_mov_b32_e32 v66, v64
	v_cndmask_b32_e64 v53, 0, 1, s[30:31]
	v_cndmask_b32_e64 v54, 0, 1, s[28:29]
	s_or_b64 s[28:29], s[30:31], s[26:27]
	v_cndmask_b32_e64 v53, v54, v53, s[28:29]
	v_and_b32_e32 v53, 1, v53
	v_cmp_eq_u32_e64 s[58:59], 1, v53
	s_xor_b64 s[34:35], s[58:59], -1
	v_mov_b32_e32 v53, v51
	s_and_saveexec_b64 s[28:29], s[34:35]
; %bb.120:
	v_lshlrev_b32_e32 v53, 2, v64
	ds_read_b32 v53, v53 offset:19460
	v_add_u32_e32 v66, 1, v64
; %bb.121:
	s_or_b64 exec, exec, s[28:29]
	v_cmp_lt_i32_e64 s[28:29], v51, v52
	s_or_b64 s[26:27], s[26:27], s[28:29]
	s_xor_b64 s[28:29], s[30:31], -1
	s_and_b64 s[26:27], s[28:29], s[26:27]
	s_xor_b64 s[30:31], s[26:27], -1
	v_mov_b32_e32 v54, v52
	v_mov_b32_e32 v67, v65
	s_and_saveexec_b64 s[28:29], s[30:31]
; %bb.122:
	v_lshlrev_b32_e32 v54, 2, v65
	ds_read_b32 v54, v54 offset:19460
	v_add_u32_e32 v67, 1, v65
; %bb.123:
	s_or_b64 exec, exec, s[28:29]
	v_cmp_ge_i32_e64 s[28:29], v67, v7
	v_cmp_ge_i32_sdwa s[34:35], v66, sext(v4) src0_sel:DWORD src1_sel:WORD_1
	s_waitcnt lgkmcnt(0)
	v_cmp_lt_i32_e64 s[30:31], v54, v53
	v_mov_b32_e32 v68, v66
	v_cndmask_b32_e64 v55, 0, 1, s[34:35]
	v_cndmask_b32_e64 v56, 0, 1, s[30:31]
	s_or_b64 s[30:31], s[34:35], s[28:29]
	v_cndmask_b32_e64 v55, v56, v55, s[30:31]
	v_and_b32_e32 v55, 1, v55
	v_cmp_eq_u32_e64 s[60:61], 1, v55
	s_xor_b64 s[62:63], s[60:61], -1
	v_mov_b32_e32 v55, v53
	s_and_saveexec_b64 s[30:31], s[62:63]
; %bb.124:
	v_lshlrev_b32_e32 v55, 2, v66
	ds_read_b32 v55, v55 offset:19460
	v_add_u32_e32 v68, 1, v66
; %bb.125:
	s_or_b64 exec, exec, s[30:31]
	v_cmp_lt_i32_e64 s[30:31], v53, v54
	s_or_b64 s[28:29], s[28:29], s[30:31]
	s_xor_b64 s[30:31], s[34:35], -1
	s_and_b64 s[28:29], s[30:31], s[28:29]
	s_xor_b64 s[34:35], s[28:29], -1
	v_mov_b32_e32 v56, v54
	v_mov_b32_e32 v69, v67
	s_and_saveexec_b64 s[30:31], s[34:35]
; %bb.126:
	v_lshlrev_b32_e32 v56, 2, v67
	ds_read_b32 v56, v56 offset:19460
	v_add_u32_e32 v69, 1, v67
; %bb.127:
	s_or_b64 exec, exec, s[30:31]
	v_cmp_ge_i32_e64 s[30:31], v69, v7
	v_cmp_ge_i32_sdwa s[64:65], v68, sext(v4) src0_sel:DWORD src1_sel:WORD_1
	s_waitcnt lgkmcnt(0)
	v_cmp_lt_i32_e64 s[34:35], v56, v55
	v_mov_b32_e32 v70, v68
	v_cndmask_b32_e64 v57, 0, 1, s[64:65]
	v_cndmask_b32_e64 v58, 0, 1, s[34:35]
	s_or_b64 s[34:35], s[64:65], s[30:31]
	v_cndmask_b32_e64 v57, v58, v57, s[34:35]
	v_and_b32_e32 v57, 1, v57
	v_cmp_eq_u32_e64 s[62:63], 1, v57
	s_xor_b64 s[66:67], s[62:63], -1
	v_mov_b32_e32 v57, v55
	s_and_saveexec_b64 s[34:35], s[66:67]
; %bb.128:
	v_lshlrev_b32_e32 v57, 2, v68
	ds_read_b32 v57, v57 offset:19460
	v_add_u32_e32 v70, 1, v68
; %bb.129:
	s_or_b64 exec, exec, s[34:35]
	v_cmp_lt_i32_e64 s[34:35], v55, v56
	s_or_b64 s[30:31], s[30:31], s[34:35]
	s_xor_b64 s[34:35], s[64:65], -1
	s_and_b64 s[30:31], s[34:35], s[30:31]
	s_xor_b64 s[64:65], s[30:31], -1
	v_mov_b32_e32 v58, v56
	v_mov_b32_e32 v71, v69
	s_and_saveexec_b64 s[34:35], s[64:65]
; %bb.130:
	v_lshlrev_b32_e32 v58, 2, v69
	ds_read_b32 v58, v58 offset:19460
	v_add_u32_e32 v71, 1, v69
; %bb.131:
	s_or_b64 exec, exec, s[34:35]
	v_cmp_ge_i32_e64 s[34:35], v71, v7
	v_cmp_ge_i32_sdwa s[78:79], v70, sext(v4) src0_sel:DWORD src1_sel:WORD_1
	s_waitcnt lgkmcnt(0)
	v_cmp_lt_i32_e64 s[66:67], v58, v57
	v_cmp_lt_i32_e64 s[64:65], v57, v58
	v_cndmask_b32_e64 v72, 0, 1, s[78:79]
	v_cndmask_b32_e64 v73, 0, 1, s[66:67]
	s_or_b64 s[66:67], s[78:79], s[34:35]
	v_cndmask_b32_e64 v72, v73, v72, s[66:67]
	v_cmp_lt_i32_sdwa s[76:77], v70, sext(v4) src0_sel:DWORD src1_sel:WORD_1
	v_and_b32_e32 v72, 1, v72
	s_or_b64 s[34:35], s[34:35], s[64:65]
	v_cmp_eq_u32_e64 s[66:67], 1, v72
	s_and_b64 s[34:35], s[76:77], s[34:35]
	v_add_u32_e32 v70, v71, v70
	v_add_u32_sdwa v4, v7, sext(v4) dst_sel:DWORD dst_unused:UNUSED_PAD src0_sel:DWORD src1_sel:WORD_1
	v_cmp_lt_i32_e64 s[64:65], v70, v4
	s_xor_b64 s[66:67], s[66:67], s[34:35]
	v_mov_b32_e32 v7, 0x8000
	s_and_b64 s[64:65], s[64:65], s[66:67]
	v_add_u32_e32 v68, v69, v68
	v_cndmask_b32_e64 v7, 0, v7, s[64:65]
	v_cmp_lt_i32_e64 s[64:65], v68, v4
	s_xor_b64 s[62:63], s[62:63], s[30:31]
	v_mov_b32_e32 v68, 0x4000
	s_and_b64 s[62:63], s[64:65], s[62:63]
	v_add_u32_e32 v66, v67, v66
	v_cndmask_b32_e64 v68, 0, v68, s[62:63]
	;; [unrolled: 6-line block ×9, first 2 shown]
	v_cmp_lt_i32_e64 s[48:49], v13, v4
	s_xor_b64 s[46:47], s[46:47], s[14:15]
	s_and_b64 s[46:47], s[48:49], s[46:47]
	v_add_u32_e32 v11, v12, v11
	v_cndmask_b32_e64 v13, 0, 64, s[46:47]
	v_cmp_lt_i32_e64 s[46:47], v11, v4
	s_xor_b64 s[44:45], s[44:45], s[12:13]
	v_add_u32_e32 v9, v10, v9
	s_and_b64 s[46:47], s[46:47], s[44:45]
	v_cmp_lt_i32_e64 s[44:45], v9, v4
	s_xor_b64 s[42:43], s[42:43], s[10:11]
	v_add_u32_e32 v6, v8, v6
	s_and_b64 s[44:45], s[44:45], s[42:43]
	;; [unrolled: 4-line block ×5, first 2 shown]
	v_cmp_lt_i32_e64 s[36:37], v1, v4
	s_xor_b64 s[38:39], vcc, s[2:3]
	s_and_b64 s[52:53], s[36:37], s[38:39]
	v_cndmask_b32_e64 v3, 0, 4, s[48:49]
	v_cndmask_b32_e64 v0, 0, 2, s[50:51]
	;; [unrolled: 1-line block ×5, first 2 shown]
	v_or3_b32 v0, v0, v1, v3
	v_cndmask_b32_e64 v11, 0, 32, s[46:47]
	v_or3_b32 v0, v0, v6, v9
	v_or3_b32 v64, v0, v11, v13
	v_or_b32_e32 v63, v15, v64
	v_or3_b32 v62, v23, v25, v63
	v_or3_b32 v61, v60, v67, v62
	;; [unrolled: 1-line block ×4, first 2 shown]
	v_bcnt_u32_b32 v8, v59, 0
	s_cmp_lg_u32 s74, 0
	v_mov_b32_e32 v9, 0
	s_barrier
	s_cbranch_scc0 .LBB27_159
; %bb.132:
	v_mbcnt_lo_u32_b32 v0, -1, 0
	v_mbcnt_hi_u32_b32 v24, -1, v0
	v_mov_b32_e32 v1, v9
	v_mov_b32_dpp v0, v8 row_shr:1 row_mask:0xf bank_mask:0xf
	v_and_b32_e32 v4, 15, v24
	v_mov_b32_dpp v3, v9 row_shr:1 row_mask:0xf bank_mask:0xf
	v_mov_b32_e32 v2, v9
	v_lshl_add_u64 v[0:1], v[0:1], 0, v[8:9]
	v_lshl_add_u64 v[2:3], v[2:3], 0, v[0:1]
	v_cmp_eq_u32_e32 vcc, 0, v4
	v_and_b32_e32 v7, 16, v24
	v_cmp_eq_u32_e64 s[36:37], 0, v24
	v_cndmask_b32_e64 v1, v3, 0, vcc
	v_cndmask_b32_e32 v5, v0, v8, vcc
	v_cndmask_b32_e32 v0, v2, v8, vcc
	v_mov_b32_dpp v3, v1 row_shr:2 row_mask:0xf bank_mask:0xf
	v_mov_b32_dpp v2, v5 row_shr:2 row_mask:0xf bank_mask:0xf
	v_lshl_add_u64 v[2:3], v[2:3], 0, v[0:1]
	v_cmp_lt_u32_e32 vcc, 1, v4
	v_cmp_ne_u32_e64 s[38:39], 0, v24
	s_nop 0
	v_cndmask_b32_e32 v1, v1, v3, vcc
	v_cndmask_b32_e32 v5, v5, v2, vcc
	v_cndmask_b32_e32 v0, v0, v2, vcc
	v_mov_b32_dpp v3, v1 row_shr:4 row_mask:0xf bank_mask:0xf
	v_mov_b32_dpp v2, v5 row_shr:4 row_mask:0xf bank_mask:0xf
	v_lshl_add_u64 v[2:3], v[2:3], 0, v[0:1]
	v_cmp_lt_u32_e32 vcc, 3, v4
	s_nop 1
	v_cndmask_b32_e32 v1, v1, v3, vcc
	v_cndmask_b32_e32 v5, v5, v2, vcc
	;; [unrolled: 1-line block ×3, first 2 shown]
	v_mov_b32_dpp v3, v1 row_shr:8 row_mask:0xf bank_mask:0xf
	v_mov_b32_dpp v2, v5 row_shr:8 row_mask:0xf bank_mask:0xf
	v_lshl_add_u64 v[2:3], v[2:3], 0, v[0:1]
	v_cmp_lt_u32_e32 vcc, 7, v4
	s_nop 1
	v_cndmask_b32_e32 v3, v1, v3, vcc
	v_cndmask_b32_e32 v6, v5, v2, vcc
	;; [unrolled: 1-line block ×3, first 2 shown]
	v_mov_b32_dpp v1, v3 row_bcast:15 row_mask:0xf bank_mask:0xf
	v_mov_b32_dpp v0, v6 row_bcast:15 row_mask:0xf bank_mask:0xf
	v_lshl_add_u64 v[4:5], v[0:1], 0, v[2:3]
	v_cmp_eq_u32_e32 vcc, 0, v7
	s_nop 1
	v_cndmask_b32_e32 v0, v5, v3, vcc
	v_cndmask_b32_e32 v1, v4, v6, vcc
	s_nop 0
	v_mov_b32_dpp v7, v0 row_bcast:31 row_mask:0xf bank_mask:0xf
	v_mov_b32_dpp v6, v1 row_bcast:31 row_mask:0xf bank_mask:0xf
	v_mov_b64_e32 v[0:1], v[8:9]
	s_and_saveexec_b64 s[40:41], s[38:39]
; %bb.133:
	v_cndmask_b32_e32 v1, v5, v3, vcc
	v_cndmask_b32_e32 v0, v4, v2, vcc
	v_cmp_lt_u32_e32 vcc, 31, v24
	s_nop 1
	v_cndmask_b32_e32 v3, 0, v7, vcc
	v_cndmask_b32_e32 v2, 0, v6, vcc
	v_lshl_add_u64 v[0:1], v[2:3], 0, v[0:1]
; %bb.134:
	s_or_b64 exec, exec, s[40:41]
	v_and_b32_e32 v3, 0x3c0, v16
	v_min_u32_e32 v3, 0xc0, v3
	v_lshrrev_b32_e32 v2, 6, v16
	v_or_b32_e32 v3, 63, v3
	v_cmp_eq_u32_e32 vcc, v16, v3
	v_lshlrev_b32_e32 v2, 3, v2
	s_and_saveexec_b64 s[38:39], vcc
; %bb.135:
	ds_write_b64 v2, v[0:1] offset:18432
; %bb.136:
	s_or_b64 exec, exec, s[38:39]
	v_cmp_gt_u32_e32 vcc, 4, v16
	s_waitcnt lgkmcnt(0)
	s_barrier
	s_and_saveexec_b64 s[40:41], vcc
	s_cbranch_execz .LBB27_138
; %bb.137:
	v_lshlrev_b32_e32 v3, 3, v16
	ds_read_b64 v[4:5], v3 offset:18432
	v_mov_b32_e32 v6, 0
	v_mov_b32_e32 v11, v6
	v_and_b32_e32 v12, 3, v24
	v_cmp_eq_u32_e32 vcc, 0, v12
	s_waitcnt lgkmcnt(0)
	v_mov_b32_dpp v10, v4 row_shr:1 row_mask:0xf bank_mask:0xf
	v_mov_b32_dpp v7, v5 row_shr:1 row_mask:0xf bank_mask:0xf
	v_lshl_add_u64 v[10:11], v[4:5], 0, v[10:11]
	v_lshl_add_u64 v[6:7], v[6:7], 0, v[10:11]
	v_cndmask_b32_e32 v11, v7, v5, vcc
	v_cndmask_b32_e32 v10, v10, v4, vcc
	v_cmp_ne_u32_e64 s[38:39], 1, v12
	v_mov_b32_dpp v11, v11 row_shr:2 row_mask:0xf bank_mask:0xf
	v_mov_b32_dpp v10, v10 row_shr:2 row_mask:0xf bank_mask:0xf
	v_cndmask_b32_e64 v10, 0, v10, s[38:39]
	v_cndmask_b32_e64 v11, 0, v11, s[38:39]
	v_lshl_add_u64 v[6:7], v[10:11], 0, v[6:7]
	v_cndmask_b32_e32 v5, v7, v5, vcc
	v_cndmask_b32_e32 v4, v6, v4, vcc
	ds_write_b64 v3, v[4:5] offset:18432
.LBB27_138:
	s_or_b64 exec, exec, s[40:41]
	v_cmp_gt_u32_e32 vcc, 64, v16
	v_cmp_lt_u32_e64 s[38:39], 63, v16
	s_waitcnt lgkmcnt(0)
	s_barrier
                                        ; implicit-def: $vgpr10_vgpr11
	s_and_saveexec_b64 s[40:41], s[38:39]
	s_cbranch_execz .LBB27_140
; %bb.139:
	ds_read_b64 v[10:11], v2 offset:18424
	s_waitcnt lgkmcnt(0)
	v_lshl_add_u64 v[0:1], v[10:11], 0, v[0:1]
.LBB27_140:
	s_or_b64 exec, exec, s[40:41]
	v_add_u32_e32 v1, -1, v24
	v_and_b32_e32 v2, 64, v24
	v_cmp_lt_i32_e64 s[38:39], v1, v2
	s_nop 1
	v_cndmask_b32_e64 v1, v1, v24, s[38:39]
	v_lshlrev_b32_e32 v1, 2, v1
	ds_bpermute_b32 v65, v1, v0
	s_and_saveexec_b64 s[54:55], vcc
	s_cbranch_execz .LBB27_164
; %bb.141:
	v_mov_b32_e32 v3, 0
	ds_read_b64 v[0:1], v3 offset:18456
	s_and_saveexec_b64 s[38:39], s[36:37]
	s_cbranch_execz .LBB27_143
; %bb.142:
	s_add_i32 s40, s74, 64
	s_mov_b32 s41, 0
	s_lshl_b64 s[40:41], s[40:41], 4
	s_add_u32 s40, s72, s40
	s_addc_u32 s41, s73, s41
	v_mov_b32_e32 v2, 1
	v_mov_b64_e32 v[4:5], s[40:41]
	s_waitcnt lgkmcnt(0)
	;;#ASMSTART
	global_store_dwordx4 v[4:5], v[0:3] off sc1	
s_waitcnt vmcnt(0)
	;;#ASMEND
.LBB27_143:
	s_or_b64 exec, exec, s[38:39]
	v_xad_u32 v12, v24, -1, s74
	v_add_u32_e32 v2, 64, v12
	v_lshl_add_u64 v[14:15], v[2:3], 4, s[72:73]
	;;#ASMSTART
	global_load_dwordx4 v[4:7], v[14:15] off sc1	
s_waitcnt vmcnt(0)
	;;#ASMEND
	s_nop 0
	v_cmp_eq_u16_sdwa s[40:41], v6, v3 src0_sel:BYTE_0 src1_sel:DWORD
	s_and_saveexec_b64 s[38:39], s[40:41]
	s_cbranch_execz .LBB27_147
; %bb.144:
	s_mov_b64 s[40:41], 0
	v_mov_b32_e32 v2, 0
.LBB27_145:                             ; =>This Inner Loop Header: Depth=1
	;;#ASMSTART
	global_load_dwordx4 v[4:7], v[14:15] off sc1	
s_waitcnt vmcnt(0)
	;;#ASMEND
	s_nop 0
	v_cmp_ne_u16_sdwa s[56:57], v6, v2 src0_sel:BYTE_0 src1_sel:DWORD
	s_or_b64 s[40:41], s[56:57], s[40:41]
	s_andn2_b64 exec, exec, s[40:41]
	s_cbranch_execnz .LBB27_145
; %bb.146:
	s_or_b64 exec, exec, s[40:41]
.LBB27_147:
	s_or_b64 exec, exec, s[38:39]
	v_mov_b32_e32 v66, 2
	v_cmp_eq_u16_sdwa s[38:39], v6, v66 src0_sel:BYTE_0 src1_sel:DWORD
	v_lshlrev_b64 v[14:15], v24, -1
	v_and_b32_e32 v67, 63, v24
	v_and_b32_e32 v2, s39, v15
	v_or_b32_e32 v2, 0x80000000, v2
	v_and_b32_e32 v3, s38, v14
	v_ffbl_b32_e32 v2, v2
	v_add_u32_e32 v2, 32, v2
	v_ffbl_b32_e32 v3, v3
	v_cmp_ne_u32_e32 vcc, 63, v67
	v_min_u32_e32 v7, v3, v2
	v_mov_b32_e32 v13, 0
	v_addc_co_u32_e32 v2, vcc, 0, v24, vcc
	v_lshlrev_b32_e32 v68, 2, v2
	ds_bpermute_b32 v2, v68, v4
	ds_bpermute_b32 v23, v68, v5
	v_mov_b32_e32 v3, v13
	v_mov_b32_e32 v22, v13
	v_cmp_lt_u32_e64 s[38:39], v67, v7
	s_waitcnt lgkmcnt(1)
	v_lshl_add_u64 v[2:3], v[4:5], 0, v[2:3]
	v_cmp_gt_u32_e32 vcc, 62, v67
	s_waitcnt lgkmcnt(0)
	v_lshl_add_u64 v[22:23], v[22:23], 0, v[2:3]
	v_cndmask_b32_e64 v25, v4, v2, s[38:39]
	v_cndmask_b32_e64 v2, 0, 2, vcc
	v_cndmask_b32_e64 v3, v5, v23, s[38:39]
	v_add_lshl_u32 v69, v2, v24, 2
	ds_bpermute_b32 v72, v69, v25
	ds_bpermute_b32 v73, v69, v3
	v_cndmask_b32_e64 v2, v4, v22, s[38:39]
	v_add_u32_e32 v70, 2, v67
	v_cmp_gt_u32_e32 vcc, v70, v7
	v_cmp_gt_u32_e64 s[40:41], 60, v67
	s_waitcnt lgkmcnt(0)
	v_lshl_add_u64 v[22:23], v[72:73], 0, v[2:3]
	v_cndmask_b32_e32 v3, v23, v3, vcc
	v_cndmask_b32_e64 v23, 0, 4, s[40:41]
	v_cndmask_b32_e32 v25, v22, v25, vcc
	v_add_lshl_u32 v71, v23, v24, 2
	ds_bpermute_b32 v74, v71, v25
	ds_bpermute_b32 v75, v71, v3
	v_cndmask_b32_e32 v2, v22, v2, vcc
	v_add_u32_e32 v72, 4, v67
	v_cmp_gt_u32_e32 vcc, v72, v7
	v_cmp_gt_u32_e64 s[40:41], 56, v67
	s_waitcnt lgkmcnt(0)
	v_lshl_add_u64 v[22:23], v[74:75], 0, v[2:3]
	v_cndmask_b32_e32 v3, v23, v3, vcc
	v_cndmask_b32_e64 v23, 0, 8, s[40:41]
	v_cndmask_b32_e32 v25, v22, v25, vcc
	v_add_lshl_u32 v73, v23, v24, 2
	ds_bpermute_b32 v76, v73, v25
	ds_bpermute_b32 v77, v73, v3
	v_cndmask_b32_e32 v2, v22, v2, vcc
	;; [unrolled: 12-line block ×3, first 2 shown]
	v_add_u32_e32 v76, 16, v67
	v_cmp_gt_u32_e32 vcc, v76, v7
	v_mov_b32_e32 v77, 0x80
	s_waitcnt lgkmcnt(0)
	v_lshl_add_u64 v[22:23], v[78:79], 0, v[2:3]
	v_cndmask_b32_e32 v78, v23, v3, vcc
	v_cndmask_b32_e32 v25, v22, v25, vcc
	v_lshl_or_b32 v77, v24, 2, v77
	ds_bpermute_b32 v24, v77, v25
	ds_bpermute_b32 v25, v77, v78
	v_add_u32_e32 v78, 32, v67
	s_and_saveexec_b64 s[40:41], s[38:39]
	s_cbranch_execz .LBB27_149
; %bb.148:
	v_cndmask_b32_e32 v3, v23, v3, vcc
	v_cndmask_b32_e32 v2, v22, v2, vcc
	v_cmp_le_u32_e32 vcc, v78, v7
	s_waitcnt lgkmcnt(0)
	s_nop 0
	v_cndmask_b32_e32 v5, 0, v25, vcc
	v_cndmask_b32_e32 v4, 0, v24, vcc
	v_lshl_add_u64 v[4:5], v[4:5], 0, v[2:3]
.LBB27_149:
	s_or_b64 exec, exec, s[40:41]
	s_branch .LBB27_152
.LBB27_150:                             ;   in Loop: Header=BB27_152 Depth=1
	s_or_b64 exec, exec, s[40:41]
	v_subrev_u32_e32 v12, 64, v12
	v_lshl_add_u64 v[4:5], v[4:5], 0, v[2:3]
	s_mov_b64 s[38:39], 0
.LBB27_151:                             ;   in Loop: Header=BB27_152 Depth=1
	s_and_b64 vcc, exec, s[38:39]
	s_cbranch_vccnz .LBB27_160
.LBB27_152:                             ; =>This Loop Header: Depth=1
                                        ;     Child Loop BB27_155 Depth 2
	v_cmp_ne_u16_sdwa s[38:39], v6, v66 src0_sel:BYTE_0 src1_sel:DWORD
	v_mov_b64_e32 v[2:3], v[4:5]
	s_cmp_lg_u64 s[38:39], exec
	s_mov_b64 s[38:39], -1
                                        ; implicit-def: $vgpr4_vgpr5
	s_cbranch_scc1 .LBB27_151
; %bb.153:                              ;   in Loop: Header=BB27_152 Depth=1
	v_lshl_add_u64 v[22:23], v[12:13], 4, s[72:73]
	;;#ASMSTART
	global_load_dwordx4 v[4:7], v[22:23] off sc1	
s_waitcnt vmcnt(0)
	;;#ASMEND
	s_nop 0
	v_cmp_eq_u16_sdwa s[40:41], v6, v13 src0_sel:BYTE_0 src1_sel:DWORD
	s_and_saveexec_b64 s[38:39], s[40:41]
	s_cbranch_execz .LBB27_157
; %bb.154:                              ;   in Loop: Header=BB27_152 Depth=1
	s_mov_b64 s[40:41], 0
.LBB27_155:                             ;   Parent Loop BB27_152 Depth=1
                                        ; =>  This Inner Loop Header: Depth=2
	;;#ASMSTART
	global_load_dwordx4 v[4:7], v[22:23] off sc1	
s_waitcnt vmcnt(0)
	;;#ASMEND
	s_nop 0
	v_cmp_ne_u16_sdwa s[56:57], v6, v13 src0_sel:BYTE_0 src1_sel:DWORD
	s_or_b64 s[40:41], s[56:57], s[40:41]
	s_andn2_b64 exec, exec, s[40:41]
	s_cbranch_execnz .LBB27_155
; %bb.156:                              ;   in Loop: Header=BB27_152 Depth=1
	s_or_b64 exec, exec, s[40:41]
.LBB27_157:                             ;   in Loop: Header=BB27_152 Depth=1
	s_or_b64 exec, exec, s[38:39]
	v_cmp_eq_u16_sdwa s[38:39], v6, v66 src0_sel:BYTE_0 src1_sel:DWORD
	s_waitcnt lgkmcnt(0)
	ds_bpermute_b32 v25, v68, v5
	v_mov_b32_e32 v24, v13
	v_and_b32_e32 v22, s38, v14
	v_and_b32_e32 v7, s39, v15
	v_ffbl_b32_e32 v23, v22
	ds_bpermute_b32 v22, v68, v4
	v_or_b32_e32 v7, 0x80000000, v7
	v_ffbl_b32_e32 v7, v7
	v_add_u32_e32 v7, 32, v7
	v_min_u32_e32 v7, v23, v7
	v_mov_b32_e32 v23, v13
	s_waitcnt lgkmcnt(0)
	v_lshl_add_u64 v[22:23], v[4:5], 0, v[22:23]
	v_lshl_add_u64 v[24:25], v[24:25], 0, v[22:23]
	v_cmp_lt_u32_e64 s[38:39], v67, v7
	v_cmp_gt_u32_e32 vcc, v70, v7
	s_nop 0
	v_cndmask_b32_e64 v79, v4, v22, s[38:39]
	v_cndmask_b32_e64 v23, v5, v25, s[38:39]
	ds_bpermute_b32 v80, v69, v79
	ds_bpermute_b32 v81, v69, v23
	v_cndmask_b32_e64 v22, v4, v24, s[38:39]
	s_waitcnt lgkmcnt(0)
	v_lshl_add_u64 v[24:25], v[80:81], 0, v[22:23]
	v_cndmask_b32_e32 v79, v24, v79, vcc
	v_cndmask_b32_e32 v23, v25, v23, vcc
	ds_bpermute_b32 v80, v71, v79
	ds_bpermute_b32 v81, v71, v23
	v_cndmask_b32_e32 v22, v24, v22, vcc
	v_cmp_gt_u32_e32 vcc, v72, v7
	s_waitcnt lgkmcnt(0)
	v_lshl_add_u64 v[24:25], v[80:81], 0, v[22:23]
	v_cndmask_b32_e32 v79, v24, v79, vcc
	v_cndmask_b32_e32 v23, v25, v23, vcc
	ds_bpermute_b32 v80, v73, v79
	ds_bpermute_b32 v81, v73, v23
	v_cndmask_b32_e32 v22, v24, v22, vcc
	v_cmp_gt_u32_e32 vcc, v74, v7
	;; [unrolled: 8-line block ×3, first 2 shown]
	s_waitcnt lgkmcnt(0)
	v_lshl_add_u64 v[24:25], v[80:81], 0, v[22:23]
	v_cndmask_b32_e32 v80, v25, v23, vcc
	v_cndmask_b32_e32 v79, v24, v79, vcc
	ds_bpermute_b32 v79, v77, v79
	ds_bpermute_b32 v80, v77, v80
	s_and_saveexec_b64 s[40:41], s[38:39]
	s_cbranch_execz .LBB27_150
; %bb.158:                              ;   in Loop: Header=BB27_152 Depth=1
	v_cndmask_b32_e32 v5, v25, v23, vcc
	v_cndmask_b32_e32 v4, v24, v22, vcc
	v_cmp_le_u32_e32 vcc, v78, v7
	s_waitcnt lgkmcnt(0)
	s_nop 0
	v_cndmask_b32_e32 v23, 0, v80, vcc
	v_cndmask_b32_e32 v22, 0, v79, vcc
	v_lshl_add_u64 v[4:5], v[22:23], 0, v[4:5]
	s_branch .LBB27_150
.LBB27_159:
                                        ; implicit-def: $vgpr0_vgpr1
                                        ; implicit-def: $vgpr4_vgpr5
	s_movk_i32 s33, 0x4820
	s_cbranch_execnz .LBB27_165
	s_branch .LBB27_174
.LBB27_160:
	s_and_saveexec_b64 s[38:39], s[36:37]
	s_cbranch_execz .LBB27_162
; %bb.161:
	s_add_i32 s40, s74, 64
	s_mov_b32 s41, 0
	s_lshl_b64 s[40:41], s[40:41], 4
	s_add_u32 s40, s72, s40
	s_addc_u32 s41, s73, s41
	v_lshl_add_u64 v[4:5], v[2:3], 0, v[0:1]
	v_mov_b32_e32 v6, 2
	v_mov_b32_e32 v7, 0
	v_mov_b64_e32 v[12:13], s[40:41]
	;;#ASMSTART
	global_store_dwordx4 v[12:13], v[4:7] off sc1	
s_waitcnt vmcnt(0)
	;;#ASMEND
	ds_write_b128 v7, v[0:3] offset:18464
.LBB27_162:
	s_or_b64 exec, exec, s[38:39]
	s_and_b64 exec, exec, s[0:1]
; %bb.163:
	v_mov_b32_e32 v0, 0
	ds_write_b64 v0, v[2:3] offset:18456
.LBB27_164:
	s_or_b64 exec, exec, s[54:55]
	v_mov_b32_e32 v0, 0
	s_waitcnt lgkmcnt(0)
	s_barrier
	ds_read_b64 v[2:3], v0 offset:18456
	s_waitcnt lgkmcnt(0)
	s_barrier
	ds_read_b64 v[0:1], v0 offset:18472
	v_cndmask_b32_e64 v4, v65, v10, s[36:37]
	v_cndmask_b32_e64 v5, 0, v11, s[36:37]
	;; [unrolled: 1-line block ×4, first 2 shown]
	v_lshl_add_u64 v[4:5], v[2:3], 0, v[4:5]
	s_movk_i32 s33, 0x4820
	s_branch .LBB27_174
.LBB27_165:
	s_waitcnt lgkmcnt(0)
	v_mov_b32_e32 v0, 0
	v_mbcnt_lo_u32_b32 v1, -1, 0
	v_mbcnt_hi_u32_b32 v4, -1, v1
	v_mov_b32_dpp v2, v8 row_shr:1 row_mask:0xf bank_mask:0xf
	v_mov_b32_e32 v3, v0
	v_and_b32_e32 v5, 15, v4
	v_mov_b32_dpp v1, v0 row_shr:1 row_mask:0xf bank_mask:0xf
	v_lshl_add_u64 v[2:3], v[2:3], 0, v[8:9]
	v_lshl_add_u64 v[0:1], v[0:1], 0, v[2:3]
	v_cmp_eq_u32_e32 vcc, 0, v5
	v_cmp_ne_u32_e64 s[38:39], 0, v4
	s_nop 0
	v_cndmask_b32_e64 v1, v1, 0, vcc
	v_cndmask_b32_e32 v6, v2, v8, vcc
	v_cndmask_b32_e32 v0, v0, v8, vcc
	v_mov_b32_dpp v3, v1 row_shr:2 row_mask:0xf bank_mask:0xf
	v_mov_b32_dpp v2, v6 row_shr:2 row_mask:0xf bank_mask:0xf
	v_lshl_add_u64 v[2:3], v[2:3], 0, v[0:1]
	v_cmp_lt_u32_e32 vcc, 1, v5
	s_nop 1
	v_cndmask_b32_e32 v1, v1, v3, vcc
	v_cndmask_b32_e32 v6, v6, v2, vcc
	v_cndmask_b32_e32 v0, v0, v2, vcc
	v_mov_b32_dpp v3, v1 row_shr:4 row_mask:0xf bank_mask:0xf
	v_mov_b32_dpp v2, v6 row_shr:4 row_mask:0xf bank_mask:0xf
	v_lshl_add_u64 v[2:3], v[2:3], 0, v[0:1]
	v_cmp_lt_u32_e32 vcc, 3, v5
	s_nop 1
	v_cndmask_b32_e32 v1, v1, v3, vcc
	;; [unrolled: 8-line block ×3, first 2 shown]
	v_cndmask_b32_e32 v5, v6, v2, vcc
	v_cndmask_b32_e32 v0, v0, v2, vcc
	v_mov_b32_dpp v3, v1 row_bcast:15 row_mask:0xf bank_mask:0xf
	v_mov_b32_dpp v2, v5 row_bcast:15 row_mask:0xf bank_mask:0xf
	v_and_b32_e32 v6, 16, v4
	v_lshl_add_u64 v[2:3], v[2:3], 0, v[0:1]
	v_cmp_eq_u32_e64 s[36:37], 0, v6
	v_cmp_eq_u32_e32 vcc, 0, v4
	s_nop 0
	v_cndmask_b32_e64 v6, v3, v1, s[36:37]
	v_cndmask_b32_e64 v5, v2, v5, s[36:37]
	s_nop 0
	v_mov_b32_dpp v6, v6 row_bcast:31 row_mask:0xf bank_mask:0xf
	v_mov_b32_dpp v5, v5 row_bcast:31 row_mask:0xf bank_mask:0xf
	s_and_saveexec_b64 s[40:41], s[38:39]
; %bb.166:
	v_cndmask_b32_e64 v1, v3, v1, s[36:37]
	v_cndmask_b32_e64 v0, v2, v0, s[36:37]
	v_cmp_lt_u32_e64 s[36:37], 31, v4
	s_nop 1
	v_cndmask_b32_e64 v3, 0, v6, s[36:37]
	v_cndmask_b32_e64 v2, 0, v5, s[36:37]
	v_lshl_add_u64 v[8:9], v[2:3], 0, v[0:1]
; %bb.167:
	s_or_b64 exec, exec, s[40:41]
	v_and_b32_e32 v1, 0x3c0, v16
	v_min_u32_e32 v1, 0xc0, v1
	v_lshrrev_b32_e32 v0, 6, v16
	v_or_b32_e32 v1, 63, v1
	v_cmp_eq_u32_e64 s[36:37], v16, v1
	v_lshlrev_b32_e32 v5, 3, v0
	s_and_saveexec_b64 s[38:39], s[36:37]
; %bb.168:
	ds_write_b64 v5, v[8:9] offset:18432
; %bb.169:
	s_or_b64 exec, exec, s[38:39]
	v_cmp_gt_u32_e64 s[36:37], 4, v16
	s_waitcnt lgkmcnt(0)
	s_barrier
	s_and_saveexec_b64 s[40:41], s[36:37]
	s_cbranch_execz .LBB27_171
; %bb.170:
	v_lshlrev_b32_e32 v9, 3, v16
	ds_read_b64 v[0:1], v9 offset:18432
	v_mov_b32_e32 v2, 0
	v_mov_b32_e32 v7, v2
	v_and_b32_e32 v10, 3, v4
	v_cmp_eq_u32_e64 s[36:37], 0, v10
	s_waitcnt lgkmcnt(0)
	v_mov_b32_dpp v6, v0 row_shr:1 row_mask:0xf bank_mask:0xf
	v_mov_b32_dpp v3, v1 row_shr:1 row_mask:0xf bank_mask:0xf
	v_lshl_add_u64 v[6:7], v[0:1], 0, v[6:7]
	v_lshl_add_u64 v[2:3], v[2:3], 0, v[6:7]
	v_cndmask_b32_e64 v7, v3, v1, s[36:37]
	v_cndmask_b32_e64 v6, v6, v0, s[36:37]
	v_cmp_ne_u32_e64 s[38:39], 1, v10
	v_mov_b32_dpp v7, v7 row_shr:2 row_mask:0xf bank_mask:0xf
	v_mov_b32_dpp v6, v6 row_shr:2 row_mask:0xf bank_mask:0xf
	v_cndmask_b32_e64 v6, 0, v6, s[38:39]
	v_cndmask_b32_e64 v7, 0, v7, s[38:39]
	v_lshl_add_u64 v[2:3], v[6:7], 0, v[2:3]
	v_cndmask_b32_e64 v1, v3, v1, s[36:37]
	v_cndmask_b32_e64 v0, v2, v0, s[36:37]
	ds_write_b64 v9, v[0:1] offset:18432
.LBB27_171:
	s_or_b64 exec, exec, s[40:41]
	v_cmp_lt_u32_e64 s[36:37], 63, v16
	v_mov_b64_e32 v[0:1], 0
	v_mov_b64_e32 v[2:3], 0
	s_waitcnt lgkmcnt(0)
	s_barrier
	s_and_saveexec_b64 s[38:39], s[36:37]
; %bb.172:
	ds_read_b64 v[2:3], v5 offset:18424
; %bb.173:
	s_or_b64 exec, exec, s[38:39]
	v_add_u32_e32 v5, -1, v4
	v_and_b32_e32 v6, 64, v4
	v_cmp_lt_i32_e64 s[36:37], v5, v6
	s_waitcnt lgkmcnt(0)
	v_add_u32_e32 v3, v2, v8
	s_movk_i32 s33, 0x4818
	v_cndmask_b32_e64 v4, v5, v4, s[36:37]
	v_lshlrev_b32_e32 v4, 2, v4
	ds_bpermute_b32 v3, v4, v3
	s_waitcnt lgkmcnt(0)
	v_cndmask_b32_e32 v4, v3, v2, vcc
.LBB27_174:
	v_mov_b32_e32 v2, s33
	ds_read_b64 v[2:3], v2
	s_waitcnt lgkmcnt(1)
	v_sub_u32_e32 v4, v4, v0
	s_waitcnt lgkmcnt(0)
	s_barrier
	s_and_saveexec_b64 s[36:37], s[52:53]
	s_cbranch_execnz .LBB27_225
; %bb.175:
	s_or_b64 exec, exec, s[36:37]
	s_and_saveexec_b64 s[2:3], s[50:51]
	s_cbranch_execnz .LBB27_226
.LBB27_176:
	s_or_b64 exec, exec, s[2:3]
	s_and_saveexec_b64 s[2:3], s[48:49]
	s_cbranch_execnz .LBB27_227
.LBB27_177:
	s_or_b64 exec, exec, s[2:3]
	s_and_saveexec_b64 s[2:3], s[42:43]
	s_cbranch_execnz .LBB27_228
.LBB27_178:
	s_or_b64 exec, exec, s[2:3]
	s_and_saveexec_b64 s[2:3], s[44:45]
	s_cbranch_execnz .LBB27_229
.LBB27_179:
	s_or_b64 exec, exec, s[2:3]
	s_and_saveexec_b64 s[2:3], s[46:47]
.LBB27_180:
	v_cndmask_b32_e64 v5, v38, v37, s[12:13]
	v_lshlrev_b32_e32 v6, 2, v4
	v_add_u32_e32 v4, 1, v4
	ds_write_b32 v6, v5 offset:19456
.LBB27_181:
	s_or_b64 exec, exec, s[2:3]
	v_and_b32_e32 v5, 64, v64
	v_cmp_ne_u32_e32 vcc, 0, v5
	s_and_saveexec_b64 s[2:3], vcc
; %bb.182:
	v_cndmask_b32_e64 v5, v40, v39, s[14:15]
	v_lshlrev_b32_e32 v6, 2, v4
	v_add_u32_e32 v4, 1, v4
	ds_write_b32 v6, v5 offset:19456
; %bb.183:
	s_or_b64 exec, exec, s[2:3]
	v_and_b32_e32 v5, 0x80, v63
	v_cmp_ne_u32_e32 vcc, 0, v5
	s_and_saveexec_b64 s[2:3], vcc
; %bb.184:
	v_cndmask_b32_e64 v5, v42, v41, s[16:17]
	v_lshlrev_b32_e32 v6, 2, v4
	v_add_u32_e32 v4, 1, v4
	ds_write_b32 v6, v5 offset:19456
; %bb.185:
	;; [unrolled: 10-line block ×9, first 2 shown]
	s_or_b64 exec, exec, s[2:3]
	v_and_b32_e32 v5, 0x8000, v59
	v_cmp_ne_u32_e32 vcc, 0, v5
	s_and_saveexec_b64 s[2:3], vcc
; %bb.200:
	v_cndmask_b32_e64 v5, v58, v57, s[34:35]
	v_lshlrev_b32_e32 v4, 2, v4
	ds_write_b32 v4, v5 offset:19456
; %bb.201:
	s_or_b64 exec, exec, s[2:3]
	v_cmp_lt_i32_e32 vcc, v16, v2
	s_waitcnt lgkmcnt(0)
	s_barrier
	s_and_saveexec_b64 s[2:3], vcc
	s_cbranch_execz .LBB27_209
; %bb.202:
	v_xad_u32 v8, v16, -1, v2
	s_movk_i32 s4, 0xff
	v_cmp_lt_u32_e32 vcc, s4, v8
	s_mov_b64 s[6:7], -1
	v_lshlrev_b64 v[4:5], 2, v[0:1]
	v_mov_b32_e32 v6, v16
	s_and_saveexec_b64 s[4:5], vcc
	s_cbranch_execz .LBB27_206
; %bb.203:
	v_lshrrev_b32_e32 v8, 8, v8
	v_add_u32_e32 v12, 1, v8
	v_and_b32_e32 v13, 0x1fffffe, v12
	v_add_u32_e32 v17, 0x100, v16
	v_mov_b32_e32 v8, 0x4c00
	v_lshl_add_u64 v[6:7], s[68:69], 0, v[4:5]
	v_lshl_add_u32 v14, v16, 2, v8
	s_mov_b64 s[6:7], 0
	v_mov_b32_e32 v9, 0
	v_mov_b32_e32 v15, v13
	v_mov_b64_e32 v[10:11], v[16:17]
.LBB27_204:                             ; =>This Inner Loop Header: Depth=1
	ds_read2st64_b32 v[22:23], v14 offset1:4
	v_add_u32_e32 v15, -2, v15
	v_mov_b32_e32 v8, v10
	v_cmp_eq_u32_e32 vcc, 0, v15
	v_add_u32_e32 v10, 0x200, v10
	v_add_u32_e32 v14, 0x800, v14
	v_lshl_add_u64 v[24:25], v[8:9], 2, v[6:7]
	v_mov_b32_e32 v8, v11
	v_add_u32_e32 v11, 0x200, v11
	s_or_b64 s[6:7], vcc, s[6:7]
	v_lshl_add_u64 v[28:29], v[8:9], 2, v[6:7]
	s_waitcnt lgkmcnt(0)
	global_store_dword v[24:25], v22, off
	global_store_dword v[28:29], v23, off
	s_andn2_b64 exec, exec, s[6:7]
	s_cbranch_execnz .LBB27_204
; %bb.205:
	s_or_b64 exec, exec, s[6:7]
	v_cmp_ne_u32_e32 vcc, v12, v13
	v_lshl_add_u32 v6, v13, 8, v16
	s_orn2_b64 s[6:7], vcc, exec
.LBB27_206:
	s_or_b64 exec, exec, s[4:5]
	s_and_b64 exec, exec, s[6:7]
	s_cbranch_execz .LBB27_209
; %bb.207:
	v_mov_b32_e32 v7, 0x4c00
	v_lshl_add_u32 v8, v6, 2, v7
	v_mov_b32_e32 v7, 0
	v_lshl_add_u64 v[4:5], s[68:69], 0, v[4:5]
	v_lshl_add_u64 v[4:5], v[6:7], 2, v[4:5]
	s_mov_b64 s[4:5], 0
	s_mov_b64 s[6:7], 0x400
.LBB27_208:                             ; =>This Inner Loop Header: Depth=1
	ds_read_b32 v7, v8
	v_add_u32_e32 v6, 0x100, v6
	v_cmp_ge_i32_e32 vcc, v6, v2
	v_add_u32_e32 v8, 0x400, v8
	s_or_b64 s[4:5], vcc, s[4:5]
	s_waitcnt lgkmcnt(0)
	global_store_dword v[4:5], v7, off
	v_lshl_add_u64 v[4:5], v[4:5], 0, s[6:7]
	s_andn2_b64 exec, exec, s[4:5]
	s_cbranch_execnz .LBB27_208
.LBB27_209:
	s_or_b64 exec, exec, s[2:3]
	s_and_saveexec_b64 s[2:3], s[0:1]
	s_cbranch_execz .LBB27_211
; %bb.210:
	v_mov_b32_e32 v4, 0
	v_lshl_add_u64 v[0:1], v[2:3], 0, v[0:1]
	global_store_dwordx2 v4, v[0:1], s[70:71]
.LBB27_211:
	s_or_b64 exec, exec, s[2:3]
	s_mov_b64 s[0:1], 0
.LBB27_212:
	s_and_b64 vcc, exec, s[0:1]
	s_cbranch_vccz .LBB27_396
; %bb.213:
	v_mov_b32_e32 v17, 0
	v_lshlrev_b32_e32 v0, 2, v16
	v_mov_b32_e32 v1, v17
	v_sub_u32_e32 v4, v16, v26
	v_mov_b32_e32 v5, v17
	v_lshl_add_u64 v[2:3], v[20:21], 0, v[0:1]
	v_lshl_add_u64 v[4:5], v[4:5], 2, v[18:19]
	v_cmp_lt_i32_e32 vcc, v16, v26
	v_add_u32_e32 v8, 0x100, v16
	s_mov_b64 s[0:1], 0x400
	v_cndmask_b32_e32 v5, v5, v3, vcc
	v_cndmask_b32_e32 v4, v4, v2, vcc
	v_sub_u32_e32 v6, v8, v26
	v_mov_b32_e32 v7, v17
	global_load_dword v1, v[4:5], off
	v_lshl_add_u64 v[4:5], v[2:3], 0, s[0:1]
	v_lshl_add_u64 v[6:7], v[6:7], 2, v[18:19]
	v_cmp_lt_i32_e32 vcc, v8, v26
	s_mov_b64 s[0:1], 0x800
	v_mov_b32_e32 v9, v17
	v_cndmask_b32_e32 v5, v7, v5, vcc
	v_cndmask_b32_e32 v4, v6, v4, vcc
	global_load_dword v4, v[4:5], off
	v_add_u32_e32 v5, 0x200, v16
	v_sub_u32_e32 v8, v5, v26
	v_lshl_add_u64 v[6:7], v[2:3], 0, s[0:1]
	v_lshl_add_u64 v[8:9], v[8:9], 2, v[18:19]
	v_cmp_lt_i32_e32 vcc, v5, v26
	v_add_u32_e32 v10, 0x300, v16
	s_mov_b64 s[0:1], 0xc00
	v_cndmask_b32_e32 v7, v9, v7, vcc
	v_cndmask_b32_e32 v6, v8, v6, vcc
	v_sub_u32_e32 v8, v10, v26
	v_mov_b32_e32 v9, v17
	global_load_dword v5, v[6:7], off
	v_lshl_add_u64 v[6:7], v[2:3], 0, s[0:1]
	v_lshl_add_u64 v[8:9], v[8:9], 2, v[18:19]
	v_cmp_lt_i32_e32 vcc, v10, v26
	v_mov_b32_e32 v11, v17
	v_add_u32_e32 v12, 0x500, v16
	v_cndmask_b32_e32 v7, v9, v7, vcc
	v_cndmask_b32_e32 v6, v8, v6, vcc
	global_load_dword v6, v[6:7], off
	v_or_b32_e32 v7, 0x400, v16
	v_lshlrev_b32_e32 v8, 2, v7
	v_mov_b32_e32 v9, v17
	v_sub_u32_e32 v10, v7, v26
	v_lshl_add_u64 v[8:9], v[20:21], 0, v[8:9]
	v_lshl_add_u64 v[10:11], v[10:11], 2, v[18:19]
	v_cmp_lt_i32_e32 vcc, v7, v26
	s_mov_b64 s[0:1], 0x1400
	v_mov_b32_e32 v13, v17
	v_cndmask_b32_e32 v9, v11, v9, vcc
	v_cndmask_b32_e32 v8, v10, v8, vcc
	v_sub_u32_e32 v10, v12, v26
	v_mov_b32_e32 v11, v17
	global_load_dword v7, v[8:9], off
	v_lshl_add_u64 v[8:9], v[2:3], 0, s[0:1]
	v_lshl_add_u64 v[10:11], v[10:11], 2, v[18:19]
	v_cmp_lt_i32_e32 vcc, v12, v26
	s_mov_b64 s[0:1], 0x1800
	v_add_u32_e32 v14, 0x700, v16
	v_cndmask_b32_e32 v9, v11, v9, vcc
	v_cndmask_b32_e32 v8, v10, v8, vcc
	global_load_dword v8, v[8:9], off
	v_add_u32_e32 v9, 0x600, v16
	v_sub_u32_e32 v12, v9, v26
	v_lshl_add_u64 v[10:11], v[2:3], 0, s[0:1]
	v_lshl_add_u64 v[12:13], v[12:13], 2, v[18:19]
	v_cmp_lt_i32_e32 vcc, v9, v26
	s_mov_b64 s[0:1], 0x1c00
	v_mov_b32_e32 v15, v17
	v_cndmask_b32_e32 v11, v13, v11, vcc
	v_cndmask_b32_e32 v10, v12, v10, vcc
	v_sub_u32_e32 v12, v14, v26
	v_mov_b32_e32 v13, v17
	global_load_dword v9, v[10:11], off
	v_lshl_add_u64 v[10:11], v[2:3], 0, s[0:1]
	v_lshl_add_u64 v[12:13], v[12:13], 2, v[18:19]
	v_cmp_lt_i32_e32 vcc, v14, v26
	v_add_u32_e32 v22, 0x900, v16
	s_mov_b64 s[0:1], 0x2400
	v_cndmask_b32_e32 v11, v13, v11, vcc
	v_cndmask_b32_e32 v10, v12, v10, vcc
	global_load_dword v10, v[10:11], off
	v_or_b32_e32 v11, 0x800, v16
	v_lshlrev_b32_e32 v12, 2, v11
	v_mov_b32_e32 v13, v17
	v_sub_u32_e32 v14, v11, v26
	v_lshl_add_u64 v[12:13], v[20:21], 0, v[12:13]
	v_lshl_add_u64 v[14:15], v[14:15], 2, v[18:19]
	v_cmp_lt_i32_e32 vcc, v11, v26
	v_mov_b32_e32 v23, v17
	v_add_u32_e32 v24, 0xb00, v16
	v_cndmask_b32_e32 v13, v15, v13, vcc
	v_cndmask_b32_e32 v12, v14, v12, vcc
	v_sub_u32_e32 v14, v22, v26
	v_mov_b32_e32 v15, v17
	global_load_dword v11, v[12:13], off
	v_lshl_add_u64 v[12:13], v[2:3], 0, s[0:1]
	v_lshl_add_u64 v[14:15], v[14:15], 2, v[18:19]
	v_cmp_lt_i32_e32 vcc, v22, v26
	s_mov_b64 s[0:1], 0x2800
	v_mov_b32_e32 v25, v17
	v_cndmask_b32_e32 v13, v15, v13, vcc
	v_cndmask_b32_e32 v12, v14, v12, vcc
	global_load_dword v12, v[12:13], off
	v_add_u32_e32 v13, 0xa00, v16
	v_sub_u32_e32 v22, v13, v26
	v_lshl_add_u64 v[14:15], v[2:3], 0, s[0:1]
	v_lshl_add_u64 v[22:23], v[22:23], 2, v[18:19]
	v_cmp_lt_i32_e32 vcc, v13, v26
	s_mov_b64 s[0:1], 0x2c00
	s_nop 0
	v_cndmask_b32_e32 v15, v23, v15, vcc
	v_cndmask_b32_e32 v14, v22, v14, vcc
	v_sub_u32_e32 v22, v24, v26
	v_mov_b32_e32 v23, v17
	global_load_dword v13, v[14:15], off
	v_lshl_add_u64 v[14:15], v[2:3], 0, s[0:1]
	v_lshl_add_u64 v[22:23], v[22:23], 2, v[18:19]
	v_cmp_lt_i32_e32 vcc, v24, v26
	v_add_u32_e32 v24, 0xd00, v16
	s_mov_b64 s[0:1], 0x3400
	v_cndmask_b32_e32 v15, v23, v15, vcc
	v_cndmask_b32_e32 v14, v22, v14, vcc
	global_load_dword v14, v[14:15], off
	v_or_b32_e32 v15, 0xc00, v16
	v_lshlrev_b32_e32 v22, 2, v15
	v_mov_b32_e32 v23, v17
	v_lshl_add_u64 v[20:21], v[20:21], 0, v[22:23]
	v_sub_u32_e32 v22, v15, v26
	v_lshl_add_u64 v[22:23], v[22:23], 2, v[18:19]
	v_cmp_lt_i32_e32 vcc, v15, v26
	s_nop 1
	v_cndmask_b32_e32 v21, v23, v21, vcc
	v_cndmask_b32_e32 v20, v22, v20, vcc
	v_sub_u32_e32 v22, v24, v26
	v_mov_b32_e32 v23, v17
	global_load_dword v15, v[20:21], off
	v_lshl_add_u64 v[20:21], v[2:3], 0, s[0:1]
	v_lshl_add_u64 v[22:23], v[22:23], 2, v[18:19]
	v_cmp_lt_i32_e32 vcc, v24, v26
	s_mov_b64 s[0:1], 0x3800
	s_nop 0
	v_cndmask_b32_e32 v21, v23, v21, vcc
	v_cndmask_b32_e32 v20, v22, v20, vcc
	global_load_dword v20, v[20:21], off
	v_add_u32_e32 v21, 0xe00, v16
	v_sub_u32_e32 v24, v21, v26
	v_lshl_add_u64 v[22:23], v[2:3], 0, s[0:1]
	v_lshl_add_u64 v[24:25], v[24:25], 2, v[18:19]
	v_cmp_lt_i32_e32 vcc, v21, v26
	v_add_u32_e32 v21, v27, v26
	s_nop 0
	v_cndmask_b32_e32 v23, v25, v23, vcc
	v_cndmask_b32_e32 v22, v24, v22, vcc
	global_load_dword v22, v[22:23], off
	v_add_u32_e32 v24, 0xf00, v16
	v_cmp_lt_i32_e32 vcc, v24, v21
	v_mov_b32_e32 v23, 0
	s_and_saveexec_b64 s[0:1], vcc
	s_cbranch_execz .LBB27_215
; %bb.214:
	s_mov_b64 s[2:3], 0x3c00
	v_sub_u32_e32 v28, v24, v26
	v_mov_b32_e32 v29, 0
	v_lshl_add_u64 v[2:3], v[2:3], 0, s[2:3]
	v_lshl_add_u64 v[18:19], v[28:29], 2, v[18:19]
	v_cmp_lt_i32_e32 vcc, v24, v26
	s_nop 1
	v_cndmask_b32_e32 v3, v19, v3, vcc
	v_cndmask_b32_e32 v2, v18, v2, vcc
	global_load_dword v23, v[2:3], off
.LBB27_215:
	s_or_b64 exec, exec, s[0:1]
	s_waitcnt vmcnt(13)
	ds_write2st64_b32 v0, v1, v4 offset0:4 offset1:8
	s_waitcnt vmcnt(11)
	ds_write2st64_b32 v0, v5, v6 offset0:12 offset1:16
	;; [unrolled: 2-line block ×8, first 2 shown]
	v_lshlrev_b32_e32 v1, 4, v16
	v_min_i32_e32 v2, v21, v1
	v_sub_u32_e32 v1, v2, v27
	v_max_i32_e32 v1, 0, v1
	v_min_i32_e32 v4, v26, v2
	v_lshlrev_b32_e32 v3, 2, v26
	v_cmp_lt_i32_e32 vcc, v1, v4
	s_waitcnt lgkmcnt(0)
	s_barrier
	s_and_saveexec_b64 s[0:1], vcc
	s_cbranch_execz .LBB27_219
; %bb.216:
	v_lshl_add_u32 v5, v2, 2, v3
	v_add_u32_e32 v5, 0x400, v5
	s_mov_b64 s[2:3], 0
.LBB27_217:                             ; =>This Inner Loop Header: Depth=1
	v_add_u32_e32 v6, v4, v1
	v_lshrrev_b32_e32 v6, 1, v6
	v_not_b32_e32 v8, v6
	v_lshlrev_b32_e32 v7, 2, v6
	v_lshl_add_u32 v8, v8, 2, v5
	ds_read_b32 v7, v7 offset:1024
	ds_read_b32 v8, v8
	v_add_u32_e32 v9, 1, v6
	s_waitcnt lgkmcnt(0)
	v_cmp_lt_i32_e32 vcc, v8, v7
	s_nop 1
	v_cndmask_b32_e32 v4, v4, v6, vcc
	v_cndmask_b32_e32 v1, v9, v1, vcc
	v_cmp_ge_i32_e32 vcc, v1, v4
	s_or_b64 s[2:3], vcc, s[2:3]
	s_andn2_b64 exec, exec, s[2:3]
	s_cbranch_execnz .LBB27_217
; %bb.218:
	s_or_b64 exec, exec, s[2:3]
.LBB27_219:
	s_or_b64 exec, exec, s[0:1]
	v_sub_u32_e32 v7, v2, v1
	v_cmp_lt_i32_e32 vcc, v7, v27
	v_mov_b32_e32 v5, 0
	s_and_saveexec_b64 s[2:3], vcc
	s_cbranch_execz .LBB27_254
; %bb.220:
	v_lshl_add_u32 v5, v7, 2, v3
	ds_read_b32 v6, v5 offset:1024
	v_mov_b32_e32 v4, 0
	v_cmp_lt_i32_e32 vcc, 0, v1
	v_mov_b32_e32 v8, 0
	s_and_saveexec_b64 s[0:1], vcc
	s_cbranch_execnz .LBB27_230
; %bb.221:
	s_or_b64 exec, exec, s[0:1]
	v_cmp_lt_i32_e32 vcc, v4, v8
	s_and_saveexec_b64 s[0:1], vcc
	s_cbranch_execnz .LBB27_231
.LBB27_222:
	s_or_b64 exec, exec, s[0:1]
	v_cmp_lt_i32_e32 vcc, v4, v8
	s_and_saveexec_b64 s[0:1], vcc
	s_cbranch_execnz .LBB27_232
.LBB27_223:
	s_or_b64 exec, exec, s[0:1]
	v_cmp_lt_i32_e32 vcc, v4, v8
	s_and_saveexec_b64 s[0:1], vcc
	s_cbranch_execnz .LBB27_233
.LBB27_224:
	s_or_b64 exec, exec, s[0:1]
	v_cmp_lt_i32_e32 vcc, v4, v8
	s_and_saveexec_b64 s[0:1], vcc
	s_cbranch_execnz .LBB27_234
	s_branch .LBB27_237
.LBB27_225:
	v_cndmask_b32_e64 v5, v28, v17, s[2:3]
	v_lshlrev_b32_e32 v6, 2, v4
	v_add_u32_e32 v4, 1, v4
	ds_write_b32 v6, v5 offset:19456
	s_or_b64 exec, exec, s[36:37]
	s_and_saveexec_b64 s[2:3], s[50:51]
	s_cbranch_execz .LBB27_176
.LBB27_226:
	v_cndmask_b32_e64 v5, v30, v29, s[4:5]
	v_lshlrev_b32_e32 v6, 2, v4
	v_add_u32_e32 v4, 1, v4
	ds_write_b32 v6, v5 offset:19456
	s_or_b64 exec, exec, s[2:3]
	s_and_saveexec_b64 s[2:3], s[48:49]
	s_cbranch_execz .LBB27_177
.LBB27_227:
	v_cndmask_b32_e64 v5, v32, v31, s[6:7]
	v_lshlrev_b32_e32 v6, 2, v4
	v_add_u32_e32 v4, 1, v4
	ds_write_b32 v6, v5 offset:19456
	s_or_b64 exec, exec, s[2:3]
	s_and_saveexec_b64 s[2:3], s[42:43]
	s_cbranch_execz .LBB27_178
.LBB27_228:
	v_cndmask_b32_e64 v5, v34, v33, s[8:9]
	v_lshlrev_b32_e32 v6, 2, v4
	v_add_u32_e32 v4, 1, v4
	ds_write_b32 v6, v5 offset:19456
	s_or_b64 exec, exec, s[2:3]
	s_and_saveexec_b64 s[2:3], s[44:45]
	s_cbranch_execz .LBB27_179
.LBB27_229:
	v_cndmask_b32_e64 v5, v36, v35, s[10:11]
	v_lshlrev_b32_e32 v6, 2, v4
	v_add_u32_e32 v4, 1, v4
	ds_write_b32 v6, v5 offset:19456
	s_or_b64 exec, exec, s[2:3]
	s_and_saveexec_b64 s[2:3], s[46:47]
	s_cbranch_execnz .LBB27_180
	s_branch .LBB27_181
.LBB27_230:
	s_movk_i32 s4, 0x1ff
	v_mul_lo_u32 v4, v1, s4
	v_ashrrev_i32_e32 v8, 9, v4
	v_lshlrev_b32_e32 v4, 2, v8
	ds_read_b32 v4, v4 offset:1024
	v_add_u32_e32 v9, 1, v8
	s_waitcnt lgkmcnt(0)
	v_cmp_lt_i32_e32 vcc, v4, v6
	s_nop 1
	v_cndmask_b32_e32 v4, 0, v9, vcc
	v_cndmask_b32_e32 v8, v8, v1, vcc
	s_or_b64 exec, exec, s[0:1]
	v_cmp_lt_i32_e32 vcc, v4, v8
	s_and_saveexec_b64 s[0:1], vcc
	s_cbranch_execz .LBB27_222
.LBB27_231:
	v_sub_u32_e32 v9, v4, v8
	v_lshl_add_u32 v9, v8, 7, v9
	v_ashrrev_i32_e32 v9, 7, v9
	v_lshlrev_b32_e32 v10, 2, v9
	ds_read_b32 v10, v10 offset:1024
	v_add_u32_e32 v11, 1, v9
	s_waitcnt lgkmcnt(0)
	v_cmp_lt_i32_e32 vcc, v10, v6
	s_nop 1
	v_cndmask_b32_e32 v4, v4, v11, vcc
	v_cndmask_b32_e32 v8, v9, v8, vcc
	s_or_b64 exec, exec, s[0:1]
	v_cmp_lt_i32_e32 vcc, v4, v8
	s_and_saveexec_b64 s[0:1], vcc
	s_cbranch_execz .LBB27_223
.LBB27_232:
	v_sub_u32_e32 v9, v4, v8
	v_lshl_add_u32 v9, v8, 5, v9
	v_ashrrev_i32_e32 v9, 5, v9
	v_lshlrev_b32_e32 v10, 2, v9
	ds_read_b32 v10, v10 offset:1024
	v_add_u32_e32 v11, 1, v9
	s_waitcnt lgkmcnt(0)
	v_cmp_lt_i32_e32 vcc, v10, v6
	s_nop 1
	v_cndmask_b32_e32 v4, v4, v11, vcc
	v_cndmask_b32_e32 v8, v9, v8, vcc
	s_or_b64 exec, exec, s[0:1]
	v_cmp_lt_i32_e32 vcc, v4, v8
	s_and_saveexec_b64 s[0:1], vcc
	s_cbranch_execz .LBB27_224
.LBB27_233:
	v_sub_u32_e32 v9, v4, v8
	v_lshl_add_u32 v9, v8, 4, v9
	v_ashrrev_i32_e32 v9, 4, v9
	v_lshlrev_b32_e32 v10, 2, v9
	ds_read_b32 v10, v10 offset:1024
	v_add_u32_e32 v11, 1, v9
	s_waitcnt lgkmcnt(0)
	v_cmp_lt_i32_e32 vcc, v10, v6
	s_nop 1
	v_cndmask_b32_e32 v4, v4, v11, vcc
	v_cndmask_b32_e32 v8, v9, v8, vcc
	s_or_b64 exec, exec, s[0:1]
	v_cmp_lt_i32_e32 vcc, v4, v8
	s_and_saveexec_b64 s[0:1], vcc
	s_cbranch_execz .LBB27_237
.LBB27_234:
	s_mov_b64 s[4:5], 0
.LBB27_235:                             ; =>This Inner Loop Header: Depth=1
	v_sub_u32_e32 v9, v4, v8
	v_lshl_add_u32 v9, v8, 1, v9
	v_ashrrev_i32_e32 v9, 1, v9
	v_lshlrev_b32_e32 v10, 2, v9
	ds_read_b32 v10, v10 offset:1024
	v_add_u32_e32 v11, 1, v9
	s_waitcnt lgkmcnt(0)
	v_cmp_lt_i32_e32 vcc, v10, v6
	s_nop 1
	v_cndmask_b32_e32 v4, v4, v11, vcc
	v_cndmask_b32_e32 v8, v9, v8, vcc
	v_cmp_ge_i32_e32 vcc, v4, v8
	s_or_b64 s[4:5], vcc, s[4:5]
	s_andn2_b64 exec, exec, s[4:5]
	s_cbranch_execnz .LBB27_235
; %bb.236:
	s_or_b64 exec, exec, s[4:5]
.LBB27_237:
	s_or_b64 exec, exec, s[0:1]
	v_mov_b32_e32 v8, 0
	v_cmp_lt_i32_e32 vcc, 0, v7
	v_mov_b32_e32 v9, v7
	s_and_saveexec_b64 s[0:1], vcc
	s_cbranch_execnz .LBB27_242
; %bb.238:
	s_or_b64 exec, exec, s[0:1]
	v_cmp_lt_i32_e32 vcc, v8, v9
	s_and_saveexec_b64 s[0:1], vcc
	s_cbranch_execnz .LBB27_243
.LBB27_239:
	s_or_b64 exec, exec, s[0:1]
	v_cmp_lt_i32_e32 vcc, v8, v9
	s_and_saveexec_b64 s[0:1], vcc
	s_cbranch_execnz .LBB27_244
.LBB27_240:
	s_or_b64 exec, exec, s[0:1]
	v_cmp_lt_i32_e32 vcc, v8, v9
	s_and_saveexec_b64 s[0:1], vcc
	s_cbranch_execnz .LBB27_245
.LBB27_241:
	s_or_b64 exec, exec, s[0:1]
	v_cmp_lt_i32_e32 vcc, v8, v9
	s_and_saveexec_b64 s[0:1], vcc
	s_cbranch_execnz .LBB27_246
	s_branch .LBB27_249
.LBB27_242:
	s_movk_i32 s4, 0x1ff
	v_mul_lo_u32 v8, v7, s4
	v_lshrrev_b32_e32 v9, 9, v8
	v_lshl_add_u32 v8, v9, 2, v3
	ds_read_b32 v8, v8 offset:1024
	v_add_u32_e32 v10, 1, v9
	s_waitcnt lgkmcnt(0)
	v_cmp_lt_i32_e32 vcc, v8, v6
	s_nop 1
	v_cndmask_b32_e32 v8, 0, v10, vcc
	v_cndmask_b32_e32 v9, v9, v7, vcc
	s_or_b64 exec, exec, s[0:1]
	v_cmp_lt_i32_e32 vcc, v8, v9
	s_and_saveexec_b64 s[0:1], vcc
	s_cbranch_execz .LBB27_239
.LBB27_243:
	v_sub_u32_e32 v10, v8, v9
	v_lshl_add_u32 v10, v9, 7, v10
	v_ashrrev_i32_e32 v10, 7, v10
	v_lshl_add_u32 v11, v10, 2, v3
	ds_read_b32 v11, v11 offset:1024
	v_add_u32_e32 v12, 1, v10
	s_waitcnt lgkmcnt(0)
	v_cmp_lt_i32_e32 vcc, v11, v6
	s_nop 1
	v_cndmask_b32_e32 v8, v8, v12, vcc
	v_cndmask_b32_e32 v9, v10, v9, vcc
	s_or_b64 exec, exec, s[0:1]
	v_cmp_lt_i32_e32 vcc, v8, v9
	s_and_saveexec_b64 s[0:1], vcc
	s_cbranch_execz .LBB27_240
.LBB27_244:
	v_sub_u32_e32 v10, v8, v9
	v_lshl_add_u32 v10, v9, 5, v10
	v_ashrrev_i32_e32 v10, 5, v10
	v_lshl_add_u32 v11, v10, 2, v3
	ds_read_b32 v11, v11 offset:1024
	v_add_u32_e32 v12, 1, v10
	s_waitcnt lgkmcnt(0)
	v_cmp_lt_i32_e32 vcc, v11, v6
	s_nop 1
	v_cndmask_b32_e32 v8, v8, v12, vcc
	v_cndmask_b32_e32 v9, v10, v9, vcc
	s_or_b64 exec, exec, s[0:1]
	v_cmp_lt_i32_e32 vcc, v8, v9
	s_and_saveexec_b64 s[0:1], vcc
	s_cbranch_execz .LBB27_241
.LBB27_245:
	v_sub_u32_e32 v10, v8, v9
	v_lshl_add_u32 v10, v9, 4, v10
	v_ashrrev_i32_e32 v10, 4, v10
	v_lshl_add_u32 v11, v10, 2, v3
	ds_read_b32 v11, v11 offset:1024
	v_add_u32_e32 v12, 1, v10
	s_waitcnt lgkmcnt(0)
	v_cmp_lt_i32_e32 vcc, v11, v6
	s_nop 1
	v_cndmask_b32_e32 v8, v8, v12, vcc
	v_cndmask_b32_e32 v9, v10, v9, vcc
	s_or_b64 exec, exec, s[0:1]
	v_cmp_lt_i32_e32 vcc, v8, v9
	s_and_saveexec_b64 s[0:1], vcc
	s_cbranch_execz .LBB27_249
.LBB27_246:
	s_mov_b64 s[4:5], 0
.LBB27_247:                             ; =>This Inner Loop Header: Depth=1
	v_sub_u32_e32 v10, v8, v9
	v_lshl_add_u32 v10, v9, 1, v10
	v_ashrrev_i32_e32 v10, 1, v10
	v_lshl_add_u32 v11, v10, 2, v3
	ds_read_b32 v11, v11 offset:1024
	v_add_u32_e32 v12, 1, v10
	s_waitcnt lgkmcnt(0)
	v_cmp_lt_i32_e32 vcc, v11, v6
	s_nop 1
	v_cndmask_b32_e32 v8, v8, v12, vcc
	v_cndmask_b32_e32 v9, v10, v9, vcc
	v_cmp_ge_i32_e32 vcc, v8, v9
	s_or_b64 s[4:5], vcc, s[4:5]
	s_andn2_b64 exec, exec, s[4:5]
	s_cbranch_execnz .LBB27_247
; %bb.248:
	s_or_b64 exec, exec, s[4:5]
.LBB27_249:
	s_or_b64 exec, exec, s[0:1]
	v_sub_u32_e32 v1, v1, v4
	v_sub_u32_e32 v10, v7, v8
	v_add_u32_e32 v9, v10, v1
	v_ashrrev_i32_e32 v1, 1, v9
	v_max_i32_e32 v1, v1, v10
	v_add3_u32 v8, v8, v1, 1
	v_min_i32_e32 v8, v8, v27
	v_sub_u32_e32 v8, v8, v7
	v_mov_b32_e32 v7, 0
	v_cmp_lt_i32_e32 vcc, 0, v8
	s_and_saveexec_b64 s[0:1], vcc
	s_cbranch_execz .LBB27_253
; %bb.250:
	v_mov_b32_e32 v7, 0
	s_mov_b64 s[4:5], 0
.LBB27_251:                             ; =>This Inner Loop Header: Depth=1
	v_add_u32_e32 v11, v7, v8
	v_lshrrev_b32_e32 v11, 1, v11
	v_lshl_add_u32 v12, v11, 2, v5
	ds_read_b32 v12, v12 offset:1024
	v_add_u32_e32 v13, 1, v11
	s_waitcnt lgkmcnt(0)
	v_cmp_lt_i32_e32 vcc, v6, v12
	s_nop 1
	v_cndmask_b32_e32 v7, v13, v7, vcc
	v_cndmask_b32_e32 v8, v8, v11, vcc
	v_cmp_ge_i32_e32 vcc, v7, v8
	s_or_b64 s[4:5], vcc, s[4:5]
	s_andn2_b64 exec, exec, s[4:5]
	s_cbranch_execnz .LBB27_251
; %bb.252:
	s_or_b64 exec, exec, s[4:5]
.LBB27_253:
	s_or_b64 exec, exec, s[0:1]
	v_add_u32_e32 v5, v7, v10
	s_waitcnt lgkmcnt(0)
	v_min_i32_e32 v6, v5, v1
	v_sub_u32_e32 v7, v9, v6
	v_add_u32_e32 v6, 1, v6
	v_cmp_eq_u32_e32 vcc, v7, v6
	v_cmp_lt_i32_e64 s[0:1], v1, v5
	s_and_b64 s[0:1], s[0:1], vcc
	v_add_u32_e32 v1, v7, v4
	v_cndmask_b32_e64 v5, 0, 1, s[0:1]
.LBB27_254:
	s_or_b64 exec, exec, s[2:3]
	v_add_u32_e32 v2, v5, v2
	v_sub_u32_e32 v5, v2, v1
	v_lshlrev_b32_e32 v4, 16, v26
	v_or_b32_e32 v4, v4, v27
	v_lshl_or_b32 v6, v1, 16, v5
	v_subrev_co_u32_e64 v7, s[0:1], 1, v16
	v_lshl_add_u32 v3, v5, 2, v3
	s_nop 0
	v_cndmask_b32_e64 v4, v6, v4, s[0:1]
	v_mov_b32_e32 v6, 0xff
	v_cndmask_b32_e64 v6, v7, v6, s[0:1]
	v_lshlrev_b32_e32 v6, 2, v6
	ds_write_b32 v6, v4
	s_waitcnt lgkmcnt(0)
	s_barrier
	v_lshlrev_b32_e32 v6, 2, v1
	ds_read_b32 v4, v0
	ds_read_b32 v22, v6 offset:1024
	ds_read_b32 v23, v3 offset:1024
	s_waitcnt lgkmcnt(2)
	v_cmp_le_i32_sdwa s[6:7], v4, v5 src0_sel:WORD_0 src1_sel:DWORD
	v_cmp_le_i32_sdwa s[4:5], sext(v4), v1 src0_sel:WORD_1 src1_sel:DWORD
	s_waitcnt lgkmcnt(0)
	v_cmp_lt_i32_e32 vcc, v23, v22
	s_or_b64 s[2:3], s[4:5], s[6:7]
	v_cndmask_b32_e64 v7, 0, 1, s[4:5]
	v_cndmask_b32_e64 v0, 0, 1, vcc
	v_cndmask_b32_e64 v0, v0, v7, s[2:3]
	v_and_b32_e32 v0, 1, v0
	v_cmp_eq_u32_e32 vcc, 1, v0
	s_xor_b64 s[10:11], vcc, -1
	v_mov_b32_e32 v24, v22
	s_and_saveexec_b64 s[8:9], s[10:11]
; %bb.255:
	ds_read_b32 v24, v6 offset:1028
	v_add_u32_e32 v1, 1, v1
; %bb.256:
	s_or_b64 exec, exec, s[8:9]
	s_xor_b64 s[8:9], s[4:5], -1
	v_cmp_lt_i32_e64 s[4:5], v22, v23
	v_add_u32_e32 v0, v5, v26
	v_mov_b32_e32 v25, v23
	v_cndmask_b32_e64 v5, 0, 1, s[4:5]
	s_and_b64 s[4:5], s[6:7], s[8:9]
	v_cndmask_b32_e64 v6, 0, 1, s[4:5]
	v_cndmask_b32_e64 v5, v5, v6, s[2:3]
	v_and_b32_e32 v5, 1, v5
	v_cmp_eq_u32_e64 s[2:3], 1, v5
	s_xor_b64 s[6:7], s[2:3], -1
	s_and_saveexec_b64 s[4:5], s[6:7]
; %bb.257:
	ds_read_b32 v25, v3 offset:1028
	v_add_u32_e32 v0, 1, v0
; %bb.258:
	s_or_b64 exec, exec, s[4:5]
	v_add_u32_sdwa v7, v4, v26 dst_sel:DWORD dst_unused:UNUSED_PAD src0_sel:WORD_0 src1_sel:DWORD
	v_cmp_ge_i32_e64 s[4:5], v0, v7
	v_cmp_ge_i32_sdwa s[8:9], v1, sext(v4) src0_sel:DWORD src1_sel:WORD_1
	s_waitcnt lgkmcnt(0)
	v_cmp_lt_i32_e64 s[6:7], v25, v24
	v_mov_b32_e32 v27, v24
	v_cndmask_b32_e64 v3, 0, 1, s[8:9]
	v_cndmask_b32_e64 v5, 0, 1, s[6:7]
	s_or_b64 s[6:7], s[8:9], s[4:5]
	v_cndmask_b32_e64 v3, v5, v3, s[6:7]
	v_and_b32_e32 v3, 1, v3
	v_cmp_eq_u32_e64 s[36:37], 1, v3
	s_xor_b64 s[10:11], s[36:37], -1
	v_mov_b32_e32 v3, v1
	s_and_saveexec_b64 s[6:7], s[10:11]
; %bb.259:
	v_lshlrev_b32_e32 v3, 2, v1
	ds_read_b32 v27, v3 offset:1028
	v_add_u32_e32 v3, 1, v1
; %bb.260:
	s_or_b64 exec, exec, s[6:7]
	v_cmp_lt_i32_e64 s[6:7], v24, v25
	s_or_b64 s[4:5], s[4:5], s[6:7]
	s_xor_b64 s[6:7], s[8:9], -1
	s_and_b64 s[4:5], s[6:7], s[4:5]
	s_xor_b64 s[8:9], s[4:5], -1
	v_mov_b32_e32 v28, v25
	v_mov_b32_e32 v5, v0
	s_and_saveexec_b64 s[6:7], s[8:9]
; %bb.261:
	v_lshlrev_b32_e32 v5, 2, v0
	ds_read_b32 v28, v5 offset:1028
	v_add_u32_e32 v5, 1, v0
; %bb.262:
	s_or_b64 exec, exec, s[6:7]
	v_cmp_ge_i32_e64 s[6:7], v5, v7
	v_cmp_ge_i32_sdwa s[10:11], v3, sext(v4) src0_sel:DWORD src1_sel:WORD_1
	s_waitcnt lgkmcnt(0)
	v_cmp_lt_i32_e64 s[8:9], v28, v27
	v_mov_b32_e32 v29, v27
	v_cndmask_b32_e64 v6, 0, 1, s[10:11]
	v_cndmask_b32_e64 v8, 0, 1, s[8:9]
	s_or_b64 s[8:9], s[10:11], s[6:7]
	v_cndmask_b32_e64 v6, v8, v6, s[8:9]
	v_and_b32_e32 v6, 1, v6
	v_cmp_eq_u32_e64 s[38:39], 1, v6
	s_xor_b64 s[12:13], s[38:39], -1
	v_mov_b32_e32 v6, v3
	s_and_saveexec_b64 s[8:9], s[12:13]
; %bb.263:
	v_lshlrev_b32_e32 v6, 2, v3
	ds_read_b32 v29, v6 offset:1028
	v_add_u32_e32 v6, 1, v3
; %bb.264:
	s_or_b64 exec, exec, s[8:9]
	v_cmp_lt_i32_e64 s[8:9], v27, v28
	s_or_b64 s[6:7], s[6:7], s[8:9]
	s_xor_b64 s[8:9], s[10:11], -1
	s_and_b64 s[6:7], s[8:9], s[6:7]
	s_xor_b64 s[10:11], s[6:7], -1
	v_mov_b32_e32 v30, v28
	v_mov_b32_e32 v8, v5
	s_and_saveexec_b64 s[8:9], s[10:11]
; %bb.265:
	v_lshlrev_b32_e32 v8, 2, v5
	ds_read_b32 v30, v8 offset:1028
	v_add_u32_e32 v8, 1, v5
; %bb.266:
	s_or_b64 exec, exec, s[8:9]
	;; [unrolled: 34-line block ×7, first 2 shown]
	v_cmp_ge_i32_e64 s[18:19], v20, v7
	v_cmp_ge_i32_sdwa s[22:23], v19, sext(v4) src0_sel:DWORD src1_sel:WORD_1
	s_waitcnt lgkmcnt(0)
	v_cmp_lt_i32_e64 s[20:21], v40, v39
	v_cndmask_b32_e64 v21, 0, 1, s[22:23]
	s_nop 0
	v_cndmask_b32_e64 v41, 0, 1, s[20:21]
	s_or_b64 s[20:21], s[22:23], s[18:19]
	v_cndmask_b32_e64 v21, v41, v21, s[20:21]
	v_and_b32_e32 v21, 1, v21
	v_cmp_eq_u32_e64 s[50:51], 1, v21
	s_xor_b64 s[24:25], s[50:51], -1
	v_mov_b32_e32 v41, v39
	v_mov_b32_e32 v21, v19
	s_and_saveexec_b64 s[20:21], s[24:25]
; %bb.287:
	v_lshlrev_b32_e32 v21, 2, v19
	ds_read_b32 v41, v21 offset:1028
	v_add_u32_e32 v21, 1, v19
; %bb.288:
	s_or_b64 exec, exec, s[20:21]
	v_cmp_lt_i32_e64 s[20:21], v39, v40
	s_or_b64 s[18:19], s[18:19], s[20:21]
	s_xor_b64 s[20:21], s[22:23], -1
	s_and_b64 s[18:19], s[20:21], s[18:19]
	s_xor_b64 s[22:23], s[18:19], -1
	v_mov_b32_e32 v42, v40
	v_mov_b32_e32 v55, v20
	s_and_saveexec_b64 s[20:21], s[22:23]
; %bb.289:
	v_lshlrev_b32_e32 v42, 2, v20
	ds_read_b32 v42, v42 offset:1028
	v_add_u32_e32 v55, 1, v20
; %bb.290:
	s_or_b64 exec, exec, s[20:21]
	v_cmp_ge_i32_e64 s[20:21], v55, v7
	v_cmp_ge_i32_sdwa s[24:25], v21, sext(v4) src0_sel:DWORD src1_sel:WORD_1
	s_waitcnt lgkmcnt(0)
	v_cmp_lt_i32_e64 s[22:23], v42, v41
	v_mov_b32_e32 v56, v21
	v_cndmask_b32_e64 v43, 0, 1, s[24:25]
	v_cndmask_b32_e64 v44, 0, 1, s[22:23]
	s_or_b64 s[22:23], s[24:25], s[20:21]
	v_cndmask_b32_e64 v43, v44, v43, s[22:23]
	v_and_b32_e32 v43, 1, v43
	v_cmp_eq_u32_e64 s[52:53], 1, v43
	s_xor_b64 s[26:27], s[52:53], -1
	v_mov_b32_e32 v43, v41
	s_and_saveexec_b64 s[22:23], s[26:27]
; %bb.291:
	v_lshlrev_b32_e32 v43, 2, v21
	ds_read_b32 v43, v43 offset:1028
	v_add_u32_e32 v56, 1, v21
; %bb.292:
	s_or_b64 exec, exec, s[22:23]
	v_cmp_lt_i32_e64 s[22:23], v41, v42
	s_or_b64 s[20:21], s[20:21], s[22:23]
	s_xor_b64 s[22:23], s[24:25], -1
	s_and_b64 s[20:21], s[22:23], s[20:21]
	s_xor_b64 s[24:25], s[20:21], -1
	v_mov_b32_e32 v44, v42
	v_mov_b32_e32 v57, v55
	s_and_saveexec_b64 s[22:23], s[24:25]
; %bb.293:
	v_lshlrev_b32_e32 v44, 2, v55
	ds_read_b32 v44, v44 offset:1028
	v_add_u32_e32 v57, 1, v55
; %bb.294:
	s_or_b64 exec, exec, s[22:23]
	v_cmp_ge_i32_e64 s[22:23], v57, v7
	v_cmp_ge_i32_sdwa s[26:27], v56, sext(v4) src0_sel:DWORD src1_sel:WORD_1
	s_waitcnt lgkmcnt(0)
	v_cmp_lt_i32_e64 s[24:25], v44, v43
	v_mov_b32_e32 v58, v56
	v_cndmask_b32_e64 v45, 0, 1, s[26:27]
	v_cndmask_b32_e64 v46, 0, 1, s[24:25]
	s_or_b64 s[24:25], s[26:27], s[22:23]
	v_cndmask_b32_e64 v45, v46, v45, s[24:25]
	v_and_b32_e32 v45, 1, v45
	v_cmp_eq_u32_e64 s[54:55], 1, v45
	s_xor_b64 s[28:29], s[54:55], -1
	;; [unrolled: 34-line block ×6, first 2 shown]
	v_mov_b32_e32 v53, v51
	s_and_saveexec_b64 s[34:35], s[66:67]
; %bb.311:
	v_lshlrev_b32_e32 v53, 2, v64
	ds_read_b32 v53, v53 offset:1028
	v_add_u32_e32 v66, 1, v64
; %bb.312:
	s_or_b64 exec, exec, s[34:35]
	v_cmp_lt_i32_e64 s[34:35], v51, v52
	s_or_b64 s[30:31], s[30:31], s[34:35]
	s_xor_b64 s[34:35], s[64:65], -1
	s_and_b64 s[30:31], s[34:35], s[30:31]
	s_xor_b64 s[64:65], s[30:31], -1
	v_mov_b32_e32 v54, v52
	v_mov_b32_e32 v67, v65
	s_and_saveexec_b64 s[34:35], s[64:65]
; %bb.313:
	v_lshlrev_b32_e32 v54, 2, v65
	ds_read_b32 v54, v54 offset:1028
	v_add_u32_e32 v67, 1, v65
; %bb.314:
	s_or_b64 exec, exec, s[34:35]
	v_cmp_ge_i32_e64 s[34:35], v67, v7
	v_cmp_ge_i32_sdwa s[76:77], v66, sext(v4) src0_sel:DWORD src1_sel:WORD_1
	s_waitcnt lgkmcnt(0)
	v_cmp_lt_i32_e64 s[66:67], v54, v53
	v_cmp_lt_i32_e64 s[64:65], v53, v54
	v_cndmask_b32_e64 v68, 0, 1, s[76:77]
	v_cndmask_b32_e64 v69, 0, 1, s[66:67]
	s_or_b64 s[66:67], s[76:77], s[34:35]
	v_cndmask_b32_e64 v68, v69, v68, s[66:67]
	v_cmp_lt_i32_sdwa s[70:71], v66, sext(v4) src0_sel:DWORD src1_sel:WORD_1
	v_and_b32_e32 v68, 1, v68
	s_or_b64 s[34:35], s[34:35], s[64:65]
	v_cmp_eq_u32_e64 s[66:67], 1, v68
	s_and_b64 s[34:35], s[70:71], s[34:35]
	v_add_u32_e32 v66, v67, v66
	v_add_u32_sdwa v4, v7, sext(v4) dst_sel:DWORD dst_unused:UNUSED_PAD src0_sel:DWORD src1_sel:WORD_1
	v_cmp_lt_i32_e64 s[64:65], v66, v4
	s_xor_b64 s[66:67], s[66:67], s[34:35]
	v_mov_b32_e32 v7, 0x8000
	s_and_b64 s[64:65], s[64:65], s[66:67]
	v_add_u32_e32 v64, v65, v64
	v_cndmask_b32_e64 v7, 0, v7, s[64:65]
	v_cmp_lt_i32_e64 s[64:65], v64, v4
	s_xor_b64 s[62:63], s[62:63], s[30:31]
	v_mov_b32_e32 v64, 0x4000
	s_and_b64 s[62:63], s[64:65], s[62:63]
	v_add_u32_e32 v62, v63, v62
	v_cndmask_b32_e64 v64, 0, v64, s[62:63]
	;; [unrolled: 6-line block ×9, first 2 shown]
	v_cmp_lt_i32_e64 s[48:49], v13, v4
	s_xor_b64 s[46:47], s[46:47], s[14:15]
	s_and_b64 s[46:47], s[48:49], s[46:47]
	v_add_u32_e32 v11, v12, v11
	v_cndmask_b32_e64 v13, 0, 64, s[46:47]
	v_cmp_lt_i32_e64 s[46:47], v11, v4
	s_xor_b64 s[44:45], s[44:45], s[12:13]
	v_add_u32_e32 v9, v10, v9
	s_and_b64 s[46:47], s[46:47], s[44:45]
	v_cmp_lt_i32_e64 s[44:45], v9, v4
	s_xor_b64 s[42:43], s[42:43], s[10:11]
	v_add_u32_e32 v6, v8, v6
	s_and_b64 s[44:45], s[44:45], s[42:43]
	;; [unrolled: 4-line block ×5, first 2 shown]
	v_cmp_lt_i32_e64 s[36:37], v1, v4
	s_xor_b64 s[38:39], vcc, s[2:3]
	s_and_b64 s[52:53], s[36:37], s[38:39]
	v_cndmask_b32_e64 v3, 0, 4, s[48:49]
	v_cndmask_b32_e64 v0, 0, 2, s[50:51]
	;; [unrolled: 1-line block ×5, first 2 shown]
	v_or3_b32 v0, v0, v1, v3
	v_cndmask_b32_e64 v11, 0, 32, s[46:47]
	v_or3_b32 v0, v0, v6, v9
	v_or3_b32 v59, v0, v11, v13
	v_or_b32_e32 v58, v15, v59
	v_or3_b32 v57, v19, v21, v58
	v_or3_b32 v56, v56, v61, v57
	;; [unrolled: 1-line block ×4, first 2 shown]
	v_bcnt_u32_b32 v8, v26, 0
	v_mov_b32_e32 v9, 0
	s_cmp_lg_u32 s74, 0
	v_mbcnt_lo_u32_b32 v60, -1, 0
	s_barrier
	s_cbranch_scc0 .LBB27_342
; %bb.315:
	v_mbcnt_hi_u32_b32 v20, -1, v60
	v_mov_b32_dpp v0, v8 row_shr:1 row_mask:0xf bank_mask:0xf
	v_mov_b32_e32 v1, v9
	v_and_b32_e32 v4, 15, v20
	v_mov_b32_dpp v3, v9 row_shr:1 row_mask:0xf bank_mask:0xf
	v_mov_b32_e32 v2, v9
	v_lshl_add_u64 v[0:1], v[0:1], 0, v[8:9]
	v_lshl_add_u64 v[2:3], v[2:3], 0, v[0:1]
	v_cmp_eq_u32_e32 vcc, 0, v4
	v_and_b32_e32 v7, 16, v20
	v_cmp_eq_u32_e64 s[36:37], 0, v20
	v_cndmask_b32_e64 v1, v3, 0, vcc
	v_cndmask_b32_e32 v5, v0, v8, vcc
	v_cndmask_b32_e32 v0, v2, v8, vcc
	v_mov_b32_dpp v3, v1 row_shr:2 row_mask:0xf bank_mask:0xf
	v_mov_b32_dpp v2, v5 row_shr:2 row_mask:0xf bank_mask:0xf
	v_lshl_add_u64 v[2:3], v[2:3], 0, v[0:1]
	v_cmp_lt_u32_e32 vcc, 1, v4
	v_cmp_ne_u32_e64 s[38:39], 0, v20
	s_nop 0
	v_cndmask_b32_e32 v1, v1, v3, vcc
	v_cndmask_b32_e32 v5, v5, v2, vcc
	;; [unrolled: 1-line block ×3, first 2 shown]
	v_mov_b32_dpp v3, v1 row_shr:4 row_mask:0xf bank_mask:0xf
	v_mov_b32_dpp v2, v5 row_shr:4 row_mask:0xf bank_mask:0xf
	v_lshl_add_u64 v[2:3], v[2:3], 0, v[0:1]
	v_cmp_lt_u32_e32 vcc, 3, v4
	s_nop 1
	v_cndmask_b32_e32 v1, v1, v3, vcc
	v_cndmask_b32_e32 v5, v5, v2, vcc
	;; [unrolled: 1-line block ×3, first 2 shown]
	v_mov_b32_dpp v3, v1 row_shr:8 row_mask:0xf bank_mask:0xf
	v_mov_b32_dpp v2, v5 row_shr:8 row_mask:0xf bank_mask:0xf
	v_lshl_add_u64 v[2:3], v[2:3], 0, v[0:1]
	v_cmp_lt_u32_e32 vcc, 7, v4
	s_nop 1
	v_cndmask_b32_e32 v3, v1, v3, vcc
	v_cndmask_b32_e32 v6, v5, v2, vcc
	;; [unrolled: 1-line block ×3, first 2 shown]
	v_mov_b32_dpp v1, v3 row_bcast:15 row_mask:0xf bank_mask:0xf
	v_mov_b32_dpp v0, v6 row_bcast:15 row_mask:0xf bank_mask:0xf
	v_lshl_add_u64 v[4:5], v[0:1], 0, v[2:3]
	v_cmp_eq_u32_e32 vcc, 0, v7
	s_nop 1
	v_cndmask_b32_e32 v0, v5, v3, vcc
	v_cndmask_b32_e32 v1, v4, v6, vcc
	s_nop 0
	v_mov_b32_dpp v7, v0 row_bcast:31 row_mask:0xf bank_mask:0xf
	v_mov_b32_dpp v6, v1 row_bcast:31 row_mask:0xf bank_mask:0xf
	v_mov_b64_e32 v[0:1], v[8:9]
	s_and_saveexec_b64 s[40:41], s[38:39]
; %bb.316:
	v_cndmask_b32_e32 v1, v5, v3, vcc
	v_cndmask_b32_e32 v0, v4, v2, vcc
	v_cmp_lt_u32_e32 vcc, 31, v20
	s_nop 1
	v_cndmask_b32_e32 v3, 0, v7, vcc
	v_cndmask_b32_e32 v2, 0, v6, vcc
	v_lshl_add_u64 v[0:1], v[2:3], 0, v[0:1]
; %bb.317:
	s_or_b64 exec, exec, s[40:41]
	v_and_b32_e32 v3, 0x3c0, v16
	v_min_u32_e32 v3, 0xc0, v3
	v_or_b32_e32 v3, 63, v3
	v_lshrrev_b32_e32 v2, 6, v16
	v_cmp_eq_u32_e32 vcc, v16, v3
	s_and_saveexec_b64 s[38:39], vcc
; %bb.318:
	v_lshlrev_b32_e32 v3, 3, v2
	ds_write_b64 v3, v[0:1]
; %bb.319:
	s_or_b64 exec, exec, s[38:39]
	v_cmp_gt_u32_e32 vcc, 4, v16
	s_waitcnt lgkmcnt(0)
	s_barrier
	s_and_saveexec_b64 s[40:41], vcc
	s_cbranch_execz .LBB27_321
; %bb.320:
	v_lshlrev_b32_e32 v3, 3, v16
	ds_read_b64 v[4:5], v3
	v_mov_b32_e32 v6, 0
	v_mov_b32_e32 v11, v6
	v_and_b32_e32 v12, 3, v20
	v_cmp_eq_u32_e32 vcc, 0, v12
	s_waitcnt lgkmcnt(0)
	v_mov_b32_dpp v10, v4 row_shr:1 row_mask:0xf bank_mask:0xf
	v_mov_b32_dpp v7, v5 row_shr:1 row_mask:0xf bank_mask:0xf
	v_lshl_add_u64 v[10:11], v[4:5], 0, v[10:11]
	v_lshl_add_u64 v[6:7], v[6:7], 0, v[10:11]
	v_cndmask_b32_e32 v11, v7, v5, vcc
	v_cndmask_b32_e32 v10, v10, v4, vcc
	v_cmp_ne_u32_e64 s[38:39], 1, v12
	v_mov_b32_dpp v11, v11 row_shr:2 row_mask:0xf bank_mask:0xf
	v_mov_b32_dpp v10, v10 row_shr:2 row_mask:0xf bank_mask:0xf
	v_cndmask_b32_e64 v10, 0, v10, s[38:39]
	v_cndmask_b32_e64 v11, 0, v11, s[38:39]
	v_lshl_add_u64 v[6:7], v[10:11], 0, v[6:7]
	v_cndmask_b32_e32 v5, v7, v5, vcc
	v_cndmask_b32_e32 v4, v6, v4, vcc
	ds_write_b64 v3, v[4:5]
.LBB27_321:
	s_or_b64 exec, exec, s[40:41]
	v_cmp_gt_u32_e32 vcc, 64, v16
	v_cmp_lt_u32_e64 s[38:39], 63, v16
	s_waitcnt lgkmcnt(0)
	s_barrier
                                        ; implicit-def: $vgpr10_vgpr11
	s_and_saveexec_b64 s[40:41], s[38:39]
	s_cbranch_execz .LBB27_323
; %bb.322:
	v_lshl_add_u32 v2, v2, 3, -8
	ds_read_b64 v[10:11], v2
	s_waitcnt lgkmcnt(0)
	v_lshl_add_u64 v[0:1], v[10:11], 0, v[0:1]
.LBB27_323:
	s_or_b64 exec, exec, s[40:41]
	v_add_u32_e32 v1, -1, v20
	v_and_b32_e32 v2, 64, v20
	v_cmp_lt_i32_e64 s[38:39], v1, v2
	s_nop 1
	v_cndmask_b32_e64 v1, v1, v20, s[38:39]
	v_lshlrev_b32_e32 v1, 2, v1
	ds_bpermute_b32 v61, v1, v0
	s_and_saveexec_b64 s[54:55], vcc
	s_cbranch_execz .LBB27_347
; %bb.324:
	v_mov_b32_e32 v3, 0
	ds_read_b64 v[0:1], v3 offset:24
	s_and_saveexec_b64 s[38:39], s[36:37]
	s_cbranch_execz .LBB27_326
; %bb.325:
	s_add_i32 s40, s74, 64
	s_mov_b32 s41, 0
	s_lshl_b64 s[40:41], s[40:41], 4
	s_add_u32 s40, s72, s40
	s_addc_u32 s41, s73, s41
	v_mov_b32_e32 v2, 1
	v_mov_b64_e32 v[4:5], s[40:41]
	s_waitcnt lgkmcnt(0)
	;;#ASMSTART
	global_store_dwordx4 v[4:5], v[0:3] off sc1	
s_waitcnt vmcnt(0)
	;;#ASMEND
.LBB27_326:
	s_or_b64 exec, exec, s[38:39]
	v_xad_u32 v12, v20, -1, s74
	v_add_u32_e32 v2, 64, v12
	v_lshl_add_u64 v[14:15], v[2:3], 4, s[72:73]
	;;#ASMSTART
	global_load_dwordx4 v[4:7], v[14:15] off sc1	
s_waitcnt vmcnt(0)
	;;#ASMEND
	s_nop 0
	v_cmp_eq_u16_sdwa s[40:41], v6, v3 src0_sel:BYTE_0 src1_sel:DWORD
	s_and_saveexec_b64 s[38:39], s[40:41]
	s_cbranch_execz .LBB27_330
; %bb.327:
	s_mov_b64 s[40:41], 0
	v_mov_b32_e32 v2, 0
.LBB27_328:                             ; =>This Inner Loop Header: Depth=1
	;;#ASMSTART
	global_load_dwordx4 v[4:7], v[14:15] off sc1	
s_waitcnt vmcnt(0)
	;;#ASMEND
	s_nop 0
	v_cmp_ne_u16_sdwa s[56:57], v6, v2 src0_sel:BYTE_0 src1_sel:DWORD
	s_or_b64 s[40:41], s[56:57], s[40:41]
	s_andn2_b64 exec, exec, s[40:41]
	s_cbranch_execnz .LBB27_328
; %bb.329:
	s_or_b64 exec, exec, s[40:41]
.LBB27_330:
	s_or_b64 exec, exec, s[38:39]
	v_mov_b32_e32 v62, 2
	v_cmp_eq_u16_sdwa s[38:39], v6, v62 src0_sel:BYTE_0 src1_sel:DWORD
	v_lshlrev_b64 v[14:15], v20, -1
	v_and_b32_e32 v63, 63, v20
	v_and_b32_e32 v2, s39, v15
	v_or_b32_e32 v2, 0x80000000, v2
	v_and_b32_e32 v3, s38, v14
	v_ffbl_b32_e32 v2, v2
	v_add_u32_e32 v2, 32, v2
	v_ffbl_b32_e32 v3, v3
	v_cmp_ne_u32_e32 vcc, 63, v63
	v_min_u32_e32 v7, v3, v2
	v_mov_b32_e32 v13, 0
	v_addc_co_u32_e32 v2, vcc, 0, v20, vcc
	v_lshlrev_b32_e32 v64, 2, v2
	ds_bpermute_b32 v2, v64, v4
	ds_bpermute_b32 v19, v64, v5
	v_mov_b32_e32 v3, v13
	v_mov_b32_e32 v18, v13
	v_cmp_lt_u32_e64 s[38:39], v63, v7
	s_waitcnt lgkmcnt(1)
	v_lshl_add_u64 v[2:3], v[4:5], 0, v[2:3]
	v_cmp_gt_u32_e32 vcc, 62, v63
	s_waitcnt lgkmcnt(0)
	v_lshl_add_u64 v[18:19], v[18:19], 0, v[2:3]
	v_cndmask_b32_e64 v21, v4, v2, s[38:39]
	v_cndmask_b32_e64 v2, 0, 2, vcc
	v_cndmask_b32_e64 v3, v5, v19, s[38:39]
	v_add_lshl_u32 v65, v2, v20, 2
	ds_bpermute_b32 v68, v65, v21
	ds_bpermute_b32 v69, v65, v3
	v_cndmask_b32_e64 v2, v4, v18, s[38:39]
	v_add_u32_e32 v66, 2, v63
	v_cmp_gt_u32_e32 vcc, v66, v7
	v_cmp_gt_u32_e64 s[40:41], 60, v63
	s_waitcnt lgkmcnt(0)
	v_lshl_add_u64 v[18:19], v[68:69], 0, v[2:3]
	v_cndmask_b32_e32 v3, v19, v3, vcc
	v_cndmask_b32_e64 v19, 0, 4, s[40:41]
	v_cndmask_b32_e32 v21, v18, v21, vcc
	v_add_lshl_u32 v67, v19, v20, 2
	ds_bpermute_b32 v70, v67, v21
	ds_bpermute_b32 v71, v67, v3
	v_cndmask_b32_e32 v2, v18, v2, vcc
	v_add_u32_e32 v68, 4, v63
	v_cmp_gt_u32_e32 vcc, v68, v7
	v_cmp_gt_u32_e64 s[40:41], 56, v63
	s_waitcnt lgkmcnt(0)
	v_lshl_add_u64 v[18:19], v[70:71], 0, v[2:3]
	v_cndmask_b32_e32 v3, v19, v3, vcc
	v_cndmask_b32_e64 v19, 0, 8, s[40:41]
	v_cndmask_b32_e32 v21, v18, v21, vcc
	v_add_lshl_u32 v69, v19, v20, 2
	ds_bpermute_b32 v72, v69, v21
	ds_bpermute_b32 v73, v69, v3
	v_cndmask_b32_e32 v2, v18, v2, vcc
	;; [unrolled: 12-line block ×3, first 2 shown]
	v_add_u32_e32 v72, 16, v63
	v_cmp_gt_u32_e32 vcc, v72, v7
	v_mov_b32_e32 v73, 0x80
	s_waitcnt lgkmcnt(0)
	v_lshl_add_u64 v[18:19], v[74:75], 0, v[2:3]
	v_cndmask_b32_e32 v74, v19, v3, vcc
	v_cndmask_b32_e32 v21, v18, v21, vcc
	v_lshl_or_b32 v73, v20, 2, v73
	ds_bpermute_b32 v20, v73, v21
	ds_bpermute_b32 v21, v73, v74
	v_add_u32_e32 v74, 32, v63
	s_and_saveexec_b64 s[40:41], s[38:39]
	s_cbranch_execz .LBB27_332
; %bb.331:
	v_cndmask_b32_e32 v3, v19, v3, vcc
	v_cndmask_b32_e32 v2, v18, v2, vcc
	v_cmp_le_u32_e32 vcc, v74, v7
	s_waitcnt lgkmcnt(0)
	s_nop 0
	v_cndmask_b32_e32 v5, 0, v21, vcc
	v_cndmask_b32_e32 v4, 0, v20, vcc
	v_lshl_add_u64 v[4:5], v[4:5], 0, v[2:3]
.LBB27_332:
	s_or_b64 exec, exec, s[40:41]
	s_branch .LBB27_335
.LBB27_333:                             ;   in Loop: Header=BB27_335 Depth=1
	s_or_b64 exec, exec, s[40:41]
	v_subrev_u32_e32 v12, 64, v12
	v_lshl_add_u64 v[4:5], v[4:5], 0, v[2:3]
	s_mov_b64 s[38:39], 0
.LBB27_334:                             ;   in Loop: Header=BB27_335 Depth=1
	s_and_b64 vcc, exec, s[38:39]
	s_cbranch_vccnz .LBB27_343
.LBB27_335:                             ; =>This Loop Header: Depth=1
                                        ;     Child Loop BB27_338 Depth 2
	v_cmp_ne_u16_sdwa s[38:39], v6, v62 src0_sel:BYTE_0 src1_sel:DWORD
	v_mov_b64_e32 v[2:3], v[4:5]
	s_cmp_lg_u64 s[38:39], exec
	s_mov_b64 s[38:39], -1
                                        ; implicit-def: $vgpr4_vgpr5
	s_cbranch_scc1 .LBB27_334
; %bb.336:                              ;   in Loop: Header=BB27_335 Depth=1
	v_lshl_add_u64 v[18:19], v[12:13], 4, s[72:73]
	;;#ASMSTART
	global_load_dwordx4 v[4:7], v[18:19] off sc1	
s_waitcnt vmcnt(0)
	;;#ASMEND
	s_nop 0
	v_cmp_eq_u16_sdwa s[40:41], v6, v13 src0_sel:BYTE_0 src1_sel:DWORD
	s_and_saveexec_b64 s[38:39], s[40:41]
	s_cbranch_execz .LBB27_340
; %bb.337:                              ;   in Loop: Header=BB27_335 Depth=1
	s_mov_b64 s[40:41], 0
.LBB27_338:                             ;   Parent Loop BB27_335 Depth=1
                                        ; =>  This Inner Loop Header: Depth=2
	;;#ASMSTART
	global_load_dwordx4 v[4:7], v[18:19] off sc1	
s_waitcnt vmcnt(0)
	;;#ASMEND
	s_nop 0
	v_cmp_ne_u16_sdwa s[56:57], v6, v13 src0_sel:BYTE_0 src1_sel:DWORD
	s_or_b64 s[40:41], s[56:57], s[40:41]
	s_andn2_b64 exec, exec, s[40:41]
	s_cbranch_execnz .LBB27_338
; %bb.339:                              ;   in Loop: Header=BB27_335 Depth=1
	s_or_b64 exec, exec, s[40:41]
.LBB27_340:                             ;   in Loop: Header=BB27_335 Depth=1
	s_or_b64 exec, exec, s[38:39]
	v_cmp_eq_u16_sdwa s[38:39], v6, v62 src0_sel:BYTE_0 src1_sel:DWORD
	s_waitcnt lgkmcnt(0)
	ds_bpermute_b32 v21, v64, v5
	v_mov_b32_e32 v20, v13
	v_and_b32_e32 v18, s38, v14
	v_and_b32_e32 v7, s39, v15
	v_ffbl_b32_e32 v19, v18
	ds_bpermute_b32 v18, v64, v4
	v_or_b32_e32 v7, 0x80000000, v7
	v_ffbl_b32_e32 v7, v7
	v_add_u32_e32 v7, 32, v7
	v_min_u32_e32 v7, v19, v7
	v_mov_b32_e32 v19, v13
	s_waitcnt lgkmcnt(0)
	v_lshl_add_u64 v[18:19], v[4:5], 0, v[18:19]
	v_lshl_add_u64 v[20:21], v[20:21], 0, v[18:19]
	v_cmp_lt_u32_e64 s[38:39], v63, v7
	v_cmp_gt_u32_e32 vcc, v66, v7
	s_nop 0
	v_cndmask_b32_e64 v75, v4, v18, s[38:39]
	v_cndmask_b32_e64 v19, v5, v21, s[38:39]
	ds_bpermute_b32 v76, v65, v75
	ds_bpermute_b32 v77, v65, v19
	v_cndmask_b32_e64 v18, v4, v20, s[38:39]
	s_waitcnt lgkmcnt(0)
	v_lshl_add_u64 v[20:21], v[76:77], 0, v[18:19]
	v_cndmask_b32_e32 v75, v20, v75, vcc
	v_cndmask_b32_e32 v19, v21, v19, vcc
	ds_bpermute_b32 v76, v67, v75
	ds_bpermute_b32 v77, v67, v19
	v_cndmask_b32_e32 v18, v20, v18, vcc
	v_cmp_gt_u32_e32 vcc, v68, v7
	s_waitcnt lgkmcnt(0)
	v_lshl_add_u64 v[20:21], v[76:77], 0, v[18:19]
	v_cndmask_b32_e32 v75, v20, v75, vcc
	v_cndmask_b32_e32 v19, v21, v19, vcc
	ds_bpermute_b32 v76, v69, v75
	ds_bpermute_b32 v77, v69, v19
	v_cndmask_b32_e32 v18, v20, v18, vcc
	v_cmp_gt_u32_e32 vcc, v70, v7
	;; [unrolled: 8-line block ×3, first 2 shown]
	s_waitcnt lgkmcnt(0)
	v_lshl_add_u64 v[20:21], v[76:77], 0, v[18:19]
	v_cndmask_b32_e32 v76, v21, v19, vcc
	v_cndmask_b32_e32 v75, v20, v75, vcc
	ds_bpermute_b32 v75, v73, v75
	ds_bpermute_b32 v76, v73, v76
	s_and_saveexec_b64 s[40:41], s[38:39]
	s_cbranch_execz .LBB27_333
; %bb.341:                              ;   in Loop: Header=BB27_335 Depth=1
	v_cndmask_b32_e32 v5, v21, v19, vcc
	v_cndmask_b32_e32 v4, v20, v18, vcc
	v_cmp_le_u32_e32 vcc, v74, v7
	s_waitcnt lgkmcnt(0)
	s_nop 0
	v_cndmask_b32_e32 v19, 0, v76, vcc
	v_cndmask_b32_e32 v18, 0, v75, vcc
	v_lshl_add_u64 v[4:5], v[18:19], 0, v[4:5]
	s_branch .LBB27_333
.LBB27_342:
                                        ; implicit-def: $vgpr2_vgpr3
                                        ; implicit-def: $vgpr4_vgpr5
	s_cbranch_execnz .LBB27_348
	s_branch .LBB27_359
.LBB27_343:
	s_and_saveexec_b64 s[38:39], s[36:37]
	s_cbranch_execz .LBB27_345
; %bb.344:
	s_add_i32 s40, s74, 64
	s_mov_b32 s41, 0
	s_lshl_b64 s[40:41], s[40:41], 4
	s_add_u32 s40, s72, s40
	s_addc_u32 s41, s73, s41
	v_lshl_add_u64 v[4:5], v[2:3], 0, v[0:1]
	v_mov_b32_e32 v6, 2
	v_mov_b32_e32 v7, 0
	v_mov_b64_e32 v[12:13], s[40:41]
	;;#ASMSTART
	global_store_dwordx4 v[12:13], v[4:7] off sc1	
s_waitcnt vmcnt(0)
	;;#ASMEND
	ds_write_b128 v7, v[0:3] offset:32
.LBB27_345:
	s_or_b64 exec, exec, s[38:39]
	s_and_b64 exec, exec, s[0:1]
; %bb.346:
	v_mov_b32_e32 v0, 0
	ds_write_b64 v0, v[2:3] offset:24
.LBB27_347:
	s_or_b64 exec, exec, s[54:55]
	v_mov_b32_e32 v0, 0
	s_waitcnt lgkmcnt(0)
	s_barrier
	ds_read_b64 v[4:5], v0 offset:24
	s_waitcnt lgkmcnt(0)
	s_barrier
	ds_read_b128 v[0:3], v0 offset:32
	v_cndmask_b32_e64 v6, v61, v10, s[36:37]
	v_cndmask_b32_e64 v7, 0, v11, s[36:37]
	;; [unrolled: 1-line block ×4, first 2 shown]
	v_lshl_add_u64 v[4:5], v[4:5], 0, v[6:7]
	s_branch .LBB27_359
.LBB27_348:
	s_waitcnt lgkmcnt(0)
	v_mov_b32_e32 v0, 0
	v_mbcnt_hi_u32_b32 v4, -1, v60
	v_mov_b32_dpp v2, v8 row_shr:1 row_mask:0xf bank_mask:0xf
	v_mov_b32_e32 v3, v0
	v_and_b32_e32 v5, 15, v4
	v_mov_b32_dpp v1, v0 row_shr:1 row_mask:0xf bank_mask:0xf
	v_lshl_add_u64 v[2:3], v[2:3], 0, v[8:9]
	v_lshl_add_u64 v[0:1], v[0:1], 0, v[2:3]
	v_cmp_eq_u32_e32 vcc, 0, v5
	v_cmp_ne_u32_e64 s[38:39], 0, v4
	s_nop 0
	v_cndmask_b32_e64 v1, v1, 0, vcc
	v_cndmask_b32_e32 v6, v2, v8, vcc
	v_cndmask_b32_e32 v0, v0, v8, vcc
	v_mov_b32_dpp v3, v1 row_shr:2 row_mask:0xf bank_mask:0xf
	v_mov_b32_dpp v2, v6 row_shr:2 row_mask:0xf bank_mask:0xf
	v_lshl_add_u64 v[2:3], v[2:3], 0, v[0:1]
	v_cmp_lt_u32_e32 vcc, 1, v5
	s_nop 1
	v_cndmask_b32_e32 v1, v1, v3, vcc
	v_cndmask_b32_e32 v6, v6, v2, vcc
	v_cndmask_b32_e32 v0, v0, v2, vcc
	v_mov_b32_dpp v3, v1 row_shr:4 row_mask:0xf bank_mask:0xf
	v_mov_b32_dpp v2, v6 row_shr:4 row_mask:0xf bank_mask:0xf
	v_lshl_add_u64 v[2:3], v[2:3], 0, v[0:1]
	v_cmp_lt_u32_e32 vcc, 3, v5
	s_nop 1
	v_cndmask_b32_e32 v1, v1, v3, vcc
	;; [unrolled: 8-line block ×3, first 2 shown]
	v_cndmask_b32_e32 v5, v6, v2, vcc
	v_cndmask_b32_e32 v0, v0, v2, vcc
	v_mov_b32_dpp v3, v1 row_bcast:15 row_mask:0xf bank_mask:0xf
	v_mov_b32_dpp v2, v5 row_bcast:15 row_mask:0xf bank_mask:0xf
	v_and_b32_e32 v6, 16, v4
	v_lshl_add_u64 v[2:3], v[2:3], 0, v[0:1]
	v_cmp_eq_u32_e64 s[36:37], 0, v6
	v_cmp_eq_u32_e32 vcc, 0, v4
	s_nop 0
	v_cndmask_b32_e64 v6, v3, v1, s[36:37]
	v_cndmask_b32_e64 v5, v2, v5, s[36:37]
	s_nop 0
	v_mov_b32_dpp v6, v6 row_bcast:31 row_mask:0xf bank_mask:0xf
	v_mov_b32_dpp v5, v5 row_bcast:31 row_mask:0xf bank_mask:0xf
	s_and_saveexec_b64 s[40:41], s[38:39]
; %bb.349:
	v_cndmask_b32_e64 v1, v3, v1, s[36:37]
	v_cndmask_b32_e64 v0, v2, v0, s[36:37]
	v_cmp_lt_u32_e64 s[36:37], 31, v4
	s_nop 1
	v_cndmask_b32_e64 v3, 0, v6, s[36:37]
	v_cndmask_b32_e64 v2, 0, v5, s[36:37]
	v_lshl_add_u64 v[8:9], v[2:3], 0, v[0:1]
; %bb.350:
	s_or_b64 exec, exec, s[40:41]
	v_and_b32_e32 v1, 0x3c0, v16
	v_min_u32_e32 v1, 0xc0, v1
	v_or_b32_e32 v1, 63, v1
	v_lshrrev_b32_e32 v0, 6, v16
	v_cmp_eq_u32_e64 s[36:37], v16, v1
	s_and_saveexec_b64 s[38:39], s[36:37]
; %bb.351:
	v_lshlrev_b32_e32 v1, 3, v0
	ds_write_b64 v1, v[8:9]
; %bb.352:
	s_or_b64 exec, exec, s[38:39]
	v_cmp_gt_u32_e64 s[36:37], 4, v16
	s_waitcnt lgkmcnt(0)
	s_barrier
	s_and_saveexec_b64 s[40:41], s[36:37]
	s_cbranch_execz .LBB27_354
; %bb.353:
	v_lshlrev_b32_e32 v1, 3, v16
	ds_read_b64 v[2:3], v1
	v_mov_b32_e32 v6, 0
	v_mov_b32_e32 v11, v6
	v_and_b32_e32 v5, 3, v4
	v_cmp_eq_u32_e64 s[36:37], 0, v5
	s_waitcnt lgkmcnt(0)
	v_mov_b32_dpp v10, v2 row_shr:1 row_mask:0xf bank_mask:0xf
	v_mov_b32_dpp v7, v3 row_shr:1 row_mask:0xf bank_mask:0xf
	v_lshl_add_u64 v[10:11], v[2:3], 0, v[10:11]
	v_lshl_add_u64 v[6:7], v[6:7], 0, v[10:11]
	v_cndmask_b32_e64 v9, v7, v3, s[36:37]
	v_cndmask_b32_e64 v10, v10, v2, s[36:37]
	v_cmp_ne_u32_e64 s[38:39], 1, v5
	v_mov_b32_dpp v9, v9 row_shr:2 row_mask:0xf bank_mask:0xf
	v_mov_b32_dpp v10, v10 row_shr:2 row_mask:0xf bank_mask:0xf
	v_cndmask_b32_e64 v10, 0, v10, s[38:39]
	v_cndmask_b32_e64 v11, 0, v9, s[38:39]
	v_lshl_add_u64 v[6:7], v[10:11], 0, v[6:7]
	v_cndmask_b32_e64 v3, v7, v3, s[36:37]
	v_cndmask_b32_e64 v2, v6, v2, s[36:37]
	ds_write_b64 v1, v[2:3]
.LBB27_354:
	s_or_b64 exec, exec, s[40:41]
	v_cmp_lt_u32_e64 s[36:37], 63, v16
	v_mov_b64_e32 v[2:3], 0
	s_waitcnt lgkmcnt(0)
	s_barrier
	s_and_saveexec_b64 s[38:39], s[36:37]
; %bb.355:
	v_lshl_add_u32 v0, v0, 3, -8
	ds_read_b64 v[2:3], v0
; %bb.356:
	s_or_b64 exec, exec, s[38:39]
	v_add_u32_e32 v1, -1, v4
	s_waitcnt lgkmcnt(0)
	v_and_b32_e32 v3, 64, v4
	v_cmp_lt_i32_e64 s[36:37], v1, v3
	v_add_u32_e32 v0, v2, v8
	v_mov_b32_e32 v3, 0
	v_cndmask_b32_e64 v1, v1, v4, s[36:37]
	v_lshlrev_b32_e32 v1, 2, v1
	ds_bpermute_b32 v4, v1, v0
	ds_read_b64 v[0:1], v3 offset:24
	s_waitcnt lgkmcnt(1)
	v_cndmask_b32_e32 v4, v4, v2, vcc
	s_and_saveexec_b64 s[36:37], s[0:1]
	s_cbranch_execz .LBB27_358
; %bb.357:
	s_add_u32 s0, s72, 0x400
	s_addc_u32 s1, s73, 0
	v_mov_b32_e32 v2, 2
	v_mov_b64_e32 v[6:7], s[0:1]
	s_waitcnt lgkmcnt(0)
	;;#ASMSTART
	global_store_dwordx4 v[6:7], v[0:3] off sc1	
s_waitcnt vmcnt(0)
	;;#ASMEND
.LBB27_358:
	s_or_b64 exec, exec, s[36:37]
	v_mov_b64_e32 v[2:3], 0
.LBB27_359:
	s_waitcnt lgkmcnt(0)
	v_sub_u32_e32 v1, v4, v2
	s_barrier
	s_and_saveexec_b64 s[0:1], s[52:53]
	s_cbranch_execnz .LBB27_397
; %bb.360:
	s_or_b64 exec, exec, s[0:1]
	s_and_saveexec_b64 s[0:1], s[50:51]
	s_cbranch_execnz .LBB27_398
.LBB27_361:
	s_or_b64 exec, exec, s[0:1]
	s_and_saveexec_b64 s[0:1], s[48:49]
	s_cbranch_execnz .LBB27_399
.LBB27_362:
	s_or_b64 exec, exec, s[0:1]
	s_and_saveexec_b64 s[0:1], s[42:43]
	s_cbranch_execnz .LBB27_400
.LBB27_363:
	s_or_b64 exec, exec, s[0:1]
	s_and_saveexec_b64 s[0:1], s[44:45]
	s_cbranch_execnz .LBB27_401
.LBB27_364:
	s_or_b64 exec, exec, s[0:1]
	s_and_saveexec_b64 s[0:1], s[46:47]
.LBB27_365:
	v_cndmask_b32_e64 v4, v34, v33, s[12:13]
	v_lshlrev_b32_e32 v5, 2, v1
	v_add_u32_e32 v1, 1, v1
	ds_write_b32 v5, v4 offset:1024
.LBB27_366:
	s_or_b64 exec, exec, s[0:1]
	v_and_b32_e32 v4, 64, v59
	v_cmp_ne_u32_e32 vcc, 0, v4
	s_and_saveexec_b64 s[0:1], vcc
; %bb.367:
	v_cndmask_b32_e64 v4, v36, v35, s[14:15]
	v_lshlrev_b32_e32 v5, 2, v1
	v_add_u32_e32 v1, 1, v1
	ds_write_b32 v5, v4 offset:1024
; %bb.368:
	s_or_b64 exec, exec, s[0:1]
	v_and_b32_e32 v4, 0x80, v58
	v_cmp_ne_u32_e32 vcc, 0, v4
	s_and_saveexec_b64 s[0:1], vcc
; %bb.369:
	v_cndmask_b32_e64 v4, v38, v37, s[16:17]
	v_lshlrev_b32_e32 v5, 2, v1
	v_add_u32_e32 v1, 1, v1
	ds_write_b32 v5, v4 offset:1024
; %bb.370:
	s_or_b64 exec, exec, s[0:1]
	v_and_b32_e32 v4, 0x100, v57
	v_cmp_ne_u32_e32 vcc, 0, v4
	s_and_saveexec_b64 s[0:1], vcc
; %bb.371:
	v_cndmask_b32_e64 v4, v40, v39, s[18:19]
	v_lshlrev_b32_e32 v5, 2, v1
	v_add_u32_e32 v1, 1, v1
	ds_write_b32 v5, v4 offset:1024
; %bb.372:
	s_or_b64 exec, exec, s[0:1]
	v_and_b32_e32 v4, 0x200, v57
	v_cmp_ne_u32_e32 vcc, 0, v4
	s_and_saveexec_b64 s[0:1], vcc
; %bb.373:
	v_cndmask_b32_e64 v4, v42, v41, s[20:21]
	v_lshlrev_b32_e32 v5, 2, v1
	v_add_u32_e32 v1, 1, v1
	ds_write_b32 v5, v4 offset:1024
; %bb.374:
	s_or_b64 exec, exec, s[0:1]
	v_and_b32_e32 v4, 0x400, v56
	v_cmp_ne_u32_e32 vcc, 0, v4
	s_and_saveexec_b64 s[0:1], vcc
; %bb.375:
	v_cndmask_b32_e64 v4, v44, v43, s[22:23]
	v_lshlrev_b32_e32 v5, 2, v1
	v_add_u32_e32 v1, 1, v1
	ds_write_b32 v5, v4 offset:1024
; %bb.376:
	s_or_b64 exec, exec, s[0:1]
	v_and_b32_e32 v4, 0x800, v56
	v_cmp_ne_u32_e32 vcc, 0, v4
	s_and_saveexec_b64 s[0:1], vcc
; %bb.377:
	v_cndmask_b32_e64 v4, v46, v45, s[24:25]
	v_lshlrev_b32_e32 v5, 2, v1
	v_add_u32_e32 v1, 1, v1
	ds_write_b32 v5, v4 offset:1024
; %bb.378:
	s_or_b64 exec, exec, s[0:1]
	v_and_b32_e32 v4, 0x1000, v55
	v_cmp_ne_u32_e32 vcc, 0, v4
	s_and_saveexec_b64 s[0:1], vcc
; %bb.379:
	v_cndmask_b32_e64 v4, v48, v47, s[26:27]
	v_lshlrev_b32_e32 v5, 2, v1
	v_add_u32_e32 v1, 1, v1
	ds_write_b32 v5, v4 offset:1024
; %bb.380:
	s_or_b64 exec, exec, s[0:1]
	v_and_b32_e32 v4, 0x2000, v55
	v_cmp_ne_u32_e32 vcc, 0, v4
	s_and_saveexec_b64 s[0:1], vcc
; %bb.381:
	v_cndmask_b32_e64 v4, v50, v49, s[28:29]
	v_lshlrev_b32_e32 v5, 2, v1
	v_add_u32_e32 v1, 1, v1
	ds_write_b32 v5, v4 offset:1024
; %bb.382:
	s_or_b64 exec, exec, s[0:1]
	v_and_b32_e32 v4, 0x4000, v26
	v_cmp_ne_u32_e32 vcc, 0, v4
	s_and_saveexec_b64 s[0:1], vcc
; %bb.383:
	v_cndmask_b32_e64 v4, v52, v51, s[30:31]
	v_lshlrev_b32_e32 v5, 2, v1
	v_add_u32_e32 v1, 1, v1
	ds_write_b32 v5, v4 offset:1024
; %bb.384:
	s_or_b64 exec, exec, s[0:1]
	v_and_b32_e32 v4, 0x8000, v26
	v_cmp_ne_u32_e32 vcc, 0, v4
	s_and_saveexec_b64 s[0:1], vcc
; %bb.385:
	v_cndmask_b32_e64 v4, v54, v53, s[34:35]
	v_lshlrev_b32_e32 v1, 2, v1
	ds_write_b32 v1, v4 offset:1024
; %bb.386:
	s_or_b64 exec, exec, s[0:1]
	v_cmp_lt_i32_e32 vcc, v16, v0
	s_waitcnt lgkmcnt(0)
	s_barrier
	s_and_saveexec_b64 s[0:1], vcc
	s_cbranch_execz .LBB27_396
; %bb.387:
	v_xad_u32 v1, v16, -1, v0
	s_movk_i32 s0, 0xff
	v_cmp_lt_u32_e32 vcc, s0, v1
	s_mov_b64 s[2:3], -1
	v_lshlrev_b64 v[2:3], 2, v[2:3]
	s_and_saveexec_b64 s[0:1], vcc
	s_cbranch_execz .LBB27_393
; %bb.388:
	v_lshrrev_b32_e32 v1, 8, v1
	v_add_u32_e32 v10, 1, v1
	v_and_b32_e32 v1, 0x1fffffe, v10
	v_add_u32_e32 v17, 0x100, v16
	v_mov_b32_e32 v6, 0x400
	v_lshl_add_u64 v[4:5], s[68:69], 0, v[2:3]
	v_lshl_add_u32 v11, v16, 2, v6
	s_mov_b64 s[2:3], 0
	v_mov_b32_e32 v7, 0
	v_mov_b32_e32 v12, v1
	v_mov_b64_e32 v[8:9], v[16:17]
.LBB27_389:                             ; =>This Inner Loop Header: Depth=1
	ds_read2st64_b32 v[14:15], v11 offset1:4
	v_add_u32_e32 v12, -2, v12
	v_mov_b32_e32 v6, v8
	v_cmp_eq_u32_e32 vcc, 0, v12
	v_add_u32_e32 v8, 0x200, v8
	v_add_u32_e32 v11, 0x800, v11
	v_lshl_add_u64 v[18:19], v[6:7], 2, v[4:5]
	v_mov_b32_e32 v6, v9
	v_add_u32_e32 v9, 0x200, v9
	s_or_b64 s[2:3], vcc, s[2:3]
	v_lshl_add_u64 v[20:21], v[6:7], 2, v[4:5]
	s_waitcnt lgkmcnt(0)
	global_store_dword v[18:19], v14, off
	global_store_dword v[20:21], v15, off
	s_andn2_b64 exec, exec, s[2:3]
	s_cbranch_execnz .LBB27_389
; %bb.390:
	s_or_b64 exec, exec, s[2:3]
	v_cmp_ne_u32_e32 vcc, v10, v1
	s_mov_b64 s[2:3], 0
	s_and_saveexec_b64 s[4:5], vcc
; %bb.391:
	s_mov_b64 s[2:3], exec
	v_lshl_add_u32 v16, v1, 8, v16
	v_mov_b32_e32 v17, 0
; %bb.392:
	s_or_b64 exec, exec, s[4:5]
	s_orn2_b64 s[2:3], s[2:3], exec
.LBB27_393:
	s_or_b64 exec, exec, s[0:1]
	s_and_b64 exec, exec, s[2:3]
	s_cbranch_execz .LBB27_396
; %bb.394:
	v_mov_b32_e32 v1, 0x400
	v_lshl_add_u64 v[2:3], s[68:69], 0, v[2:3]
	v_lshl_add_u32 v1, v16, 2, v1
	v_lshl_add_u64 v[2:3], v[16:17], 2, v[2:3]
	s_mov_b64 s[0:1], 0
	s_mov_b64 s[2:3], 0x400
.LBB27_395:                             ; =>This Inner Loop Header: Depth=1
	ds_read_b32 v4, v1
	v_add_u32_e32 v16, 0x100, v16
	v_cmp_ge_i32_e32 vcc, v16, v0
	v_add_u32_e32 v1, 0x400, v1
	s_or_b64 s[0:1], vcc, s[0:1]
	s_waitcnt lgkmcnt(0)
	global_store_dword v[2:3], v4, off
	v_lshl_add_u64 v[2:3], v[2:3], 0, s[2:3]
	s_andn2_b64 exec, exec, s[0:1]
	s_cbranch_execnz .LBB27_395
.LBB27_396:
	s_endpgm
.LBB27_397:
	v_cndmask_b32_e64 v4, v23, v22, s[2:3]
	v_lshlrev_b32_e32 v5, 2, v1
	v_add_u32_e32 v1, 1, v1
	ds_write_b32 v5, v4 offset:1024
	s_or_b64 exec, exec, s[0:1]
	s_and_saveexec_b64 s[0:1], s[50:51]
	s_cbranch_execz .LBB27_361
.LBB27_398:
	v_cndmask_b32_e64 v4, v25, v24, s[4:5]
	v_lshlrev_b32_e32 v5, 2, v1
	v_add_u32_e32 v1, 1, v1
	ds_write_b32 v5, v4 offset:1024
	s_or_b64 exec, exec, s[0:1]
	s_and_saveexec_b64 s[0:1], s[48:49]
	s_cbranch_execz .LBB27_362
.LBB27_399:
	v_cndmask_b32_e64 v4, v28, v27, s[6:7]
	v_lshlrev_b32_e32 v5, 2, v1
	v_add_u32_e32 v1, 1, v1
	ds_write_b32 v5, v4 offset:1024
	s_or_b64 exec, exec, s[0:1]
	s_and_saveexec_b64 s[0:1], s[42:43]
	s_cbranch_execz .LBB27_363
.LBB27_400:
	v_cndmask_b32_e64 v4, v30, v29, s[8:9]
	v_lshlrev_b32_e32 v5, 2, v1
	v_add_u32_e32 v1, 1, v1
	ds_write_b32 v5, v4 offset:1024
	s_or_b64 exec, exec, s[0:1]
	s_and_saveexec_b64 s[0:1], s[44:45]
	s_cbranch_execz .LBB27_364
.LBB27_401:
	v_cndmask_b32_e64 v4, v32, v31, s[10:11]
	v_lshlrev_b32_e32 v5, 2, v1
	v_add_u32_e32 v1, 1, v1
	ds_write_b32 v5, v4 offset:1024
	s_or_b64 exec, exec, s[0:1]
	s_and_saveexec_b64 s[0:1], s[46:47]
	s_cbranch_execnz .LBB27_365
	s_branch .LBB27_366
	.section	.rodata,"a",@progbits
	.p2align	6, 0x0
	.amdhsa_kernel _ZN6thrust23THRUST_200600_302600_NS11hip_rocprim16__set_operations22lookback_set_op_kernelIN7rocprim17ROCPRIM_400000_NS13kernel_configILj256ELj16ELj4294967295EEELb0ENS0_6detail15normal_iteratorINS0_10device_ptrIKiEEEESD_PiSE_lNS9_INSA_IiEEEESE_NS0_4lessIiEENS2_31serial_set_symmetric_differenceENS5_6detail19lookback_scan_stateIlLb0ELb1EEEEEvT1_T2_T3_T4_T6_T7_T8_T9_PNS0_4pairIT5_SW_EEPSW_T10_NSK_16ordered_block_idIjEE
		.amdhsa_group_segment_fixed_size 36868
		.amdhsa_private_segment_fixed_size 0
		.amdhsa_kernarg_size 344
		.amdhsa_user_sgpr_count 2
		.amdhsa_user_sgpr_dispatch_ptr 0
		.amdhsa_user_sgpr_queue_ptr 0
		.amdhsa_user_sgpr_kernarg_segment_ptr 1
		.amdhsa_user_sgpr_dispatch_id 0
		.amdhsa_user_sgpr_kernarg_preload_length 0
		.amdhsa_user_sgpr_kernarg_preload_offset 0
		.amdhsa_user_sgpr_private_segment_size 0
		.amdhsa_uses_dynamic_stack 0
		.amdhsa_enable_private_segment 0
		.amdhsa_system_sgpr_workgroup_id_x 1
		.amdhsa_system_sgpr_workgroup_id_y 0
		.amdhsa_system_sgpr_workgroup_id_z 0
		.amdhsa_system_sgpr_workgroup_info 0
		.amdhsa_system_vgpr_workitem_id 2
		.amdhsa_next_free_vgpr 97
		.amdhsa_next_free_sgpr 96
		.amdhsa_accum_offset 84
		.amdhsa_reserve_vcc 1
		.amdhsa_float_round_mode_32 0
		.amdhsa_float_round_mode_16_64 0
		.amdhsa_float_denorm_mode_32 3
		.amdhsa_float_denorm_mode_16_64 3
		.amdhsa_dx10_clamp 1
		.amdhsa_ieee_mode 1
		.amdhsa_fp16_overflow 0
		.amdhsa_tg_split 0
		.amdhsa_exception_fp_ieee_invalid_op 0
		.amdhsa_exception_fp_denorm_src 0
		.amdhsa_exception_fp_ieee_div_zero 0
		.amdhsa_exception_fp_ieee_overflow 0
		.amdhsa_exception_fp_ieee_underflow 0
		.amdhsa_exception_fp_ieee_inexact 0
		.amdhsa_exception_int_div_zero 0
	.end_amdhsa_kernel
	.section	.text._ZN6thrust23THRUST_200600_302600_NS11hip_rocprim16__set_operations22lookback_set_op_kernelIN7rocprim17ROCPRIM_400000_NS13kernel_configILj256ELj16ELj4294967295EEELb0ENS0_6detail15normal_iteratorINS0_10device_ptrIKiEEEESD_PiSE_lNS9_INSA_IiEEEESE_NS0_4lessIiEENS2_31serial_set_symmetric_differenceENS5_6detail19lookback_scan_stateIlLb0ELb1EEEEEvT1_T2_T3_T4_T6_T7_T8_T9_PNS0_4pairIT5_SW_EEPSW_T10_NSK_16ordered_block_idIjEE,"axG",@progbits,_ZN6thrust23THRUST_200600_302600_NS11hip_rocprim16__set_operations22lookback_set_op_kernelIN7rocprim17ROCPRIM_400000_NS13kernel_configILj256ELj16ELj4294967295EEELb0ENS0_6detail15normal_iteratorINS0_10device_ptrIKiEEEESD_PiSE_lNS9_INSA_IiEEEESE_NS0_4lessIiEENS2_31serial_set_symmetric_differenceENS5_6detail19lookback_scan_stateIlLb0ELb1EEEEEvT1_T2_T3_T4_T6_T7_T8_T9_PNS0_4pairIT5_SW_EEPSW_T10_NSK_16ordered_block_idIjEE,comdat
.Lfunc_end27:
	.size	_ZN6thrust23THRUST_200600_302600_NS11hip_rocprim16__set_operations22lookback_set_op_kernelIN7rocprim17ROCPRIM_400000_NS13kernel_configILj256ELj16ELj4294967295EEELb0ENS0_6detail15normal_iteratorINS0_10device_ptrIKiEEEESD_PiSE_lNS9_INSA_IiEEEESE_NS0_4lessIiEENS2_31serial_set_symmetric_differenceENS5_6detail19lookback_scan_stateIlLb0ELb1EEEEEvT1_T2_T3_T4_T6_T7_T8_T9_PNS0_4pairIT5_SW_EEPSW_T10_NSK_16ordered_block_idIjEE, .Lfunc_end27-_ZN6thrust23THRUST_200600_302600_NS11hip_rocprim16__set_operations22lookback_set_op_kernelIN7rocprim17ROCPRIM_400000_NS13kernel_configILj256ELj16ELj4294967295EEELb0ENS0_6detail15normal_iteratorINS0_10device_ptrIKiEEEESD_PiSE_lNS9_INSA_IiEEEESE_NS0_4lessIiEENS2_31serial_set_symmetric_differenceENS5_6detail19lookback_scan_stateIlLb0ELb1EEEEEvT1_T2_T3_T4_T6_T7_T8_T9_PNS0_4pairIT5_SW_EEPSW_T10_NSK_16ordered_block_idIjEE
                                        ; -- End function
	.set _ZN6thrust23THRUST_200600_302600_NS11hip_rocprim16__set_operations22lookback_set_op_kernelIN7rocprim17ROCPRIM_400000_NS13kernel_configILj256ELj16ELj4294967295EEELb0ENS0_6detail15normal_iteratorINS0_10device_ptrIKiEEEESD_PiSE_lNS9_INSA_IiEEEESE_NS0_4lessIiEENS2_31serial_set_symmetric_differenceENS5_6detail19lookback_scan_stateIlLb0ELb1EEEEEvT1_T2_T3_T4_T6_T7_T8_T9_PNS0_4pairIT5_SW_EEPSW_T10_NSK_16ordered_block_idIjEE.num_vgpr, 82
	.set _ZN6thrust23THRUST_200600_302600_NS11hip_rocprim16__set_operations22lookback_set_op_kernelIN7rocprim17ROCPRIM_400000_NS13kernel_configILj256ELj16ELj4294967295EEELb0ENS0_6detail15normal_iteratorINS0_10device_ptrIKiEEEESD_PiSE_lNS9_INSA_IiEEEESE_NS0_4lessIiEENS2_31serial_set_symmetric_differenceENS5_6detail19lookback_scan_stateIlLb0ELb1EEEEEvT1_T2_T3_T4_T6_T7_T8_T9_PNS0_4pairIT5_SW_EEPSW_T10_NSK_16ordered_block_idIjEE.num_agpr, 0
	.set _ZN6thrust23THRUST_200600_302600_NS11hip_rocprim16__set_operations22lookback_set_op_kernelIN7rocprim17ROCPRIM_400000_NS13kernel_configILj256ELj16ELj4294967295EEELb0ENS0_6detail15normal_iteratorINS0_10device_ptrIKiEEEESD_PiSE_lNS9_INSA_IiEEEESE_NS0_4lessIiEENS2_31serial_set_symmetric_differenceENS5_6detail19lookback_scan_stateIlLb0ELb1EEEEEvT1_T2_T3_T4_T6_T7_T8_T9_PNS0_4pairIT5_SW_EEPSW_T10_NSK_16ordered_block_idIjEE.numbered_sgpr, 80
	.set _ZN6thrust23THRUST_200600_302600_NS11hip_rocprim16__set_operations22lookback_set_op_kernelIN7rocprim17ROCPRIM_400000_NS13kernel_configILj256ELj16ELj4294967295EEELb0ENS0_6detail15normal_iteratorINS0_10device_ptrIKiEEEESD_PiSE_lNS9_INSA_IiEEEESE_NS0_4lessIiEENS2_31serial_set_symmetric_differenceENS5_6detail19lookback_scan_stateIlLb0ELb1EEEEEvT1_T2_T3_T4_T6_T7_T8_T9_PNS0_4pairIT5_SW_EEPSW_T10_NSK_16ordered_block_idIjEE.num_named_barrier, 0
	.set _ZN6thrust23THRUST_200600_302600_NS11hip_rocprim16__set_operations22lookback_set_op_kernelIN7rocprim17ROCPRIM_400000_NS13kernel_configILj256ELj16ELj4294967295EEELb0ENS0_6detail15normal_iteratorINS0_10device_ptrIKiEEEESD_PiSE_lNS9_INSA_IiEEEESE_NS0_4lessIiEENS2_31serial_set_symmetric_differenceENS5_6detail19lookback_scan_stateIlLb0ELb1EEEEEvT1_T2_T3_T4_T6_T7_T8_T9_PNS0_4pairIT5_SW_EEPSW_T10_NSK_16ordered_block_idIjEE.private_seg_size, 0
	.set _ZN6thrust23THRUST_200600_302600_NS11hip_rocprim16__set_operations22lookback_set_op_kernelIN7rocprim17ROCPRIM_400000_NS13kernel_configILj256ELj16ELj4294967295EEELb0ENS0_6detail15normal_iteratorINS0_10device_ptrIKiEEEESD_PiSE_lNS9_INSA_IiEEEESE_NS0_4lessIiEENS2_31serial_set_symmetric_differenceENS5_6detail19lookback_scan_stateIlLb0ELb1EEEEEvT1_T2_T3_T4_T6_T7_T8_T9_PNS0_4pairIT5_SW_EEPSW_T10_NSK_16ordered_block_idIjEE.uses_vcc, 1
	.set _ZN6thrust23THRUST_200600_302600_NS11hip_rocprim16__set_operations22lookback_set_op_kernelIN7rocprim17ROCPRIM_400000_NS13kernel_configILj256ELj16ELj4294967295EEELb0ENS0_6detail15normal_iteratorINS0_10device_ptrIKiEEEESD_PiSE_lNS9_INSA_IiEEEESE_NS0_4lessIiEENS2_31serial_set_symmetric_differenceENS5_6detail19lookback_scan_stateIlLb0ELb1EEEEEvT1_T2_T3_T4_T6_T7_T8_T9_PNS0_4pairIT5_SW_EEPSW_T10_NSK_16ordered_block_idIjEE.uses_flat_scratch, 0
	.set _ZN6thrust23THRUST_200600_302600_NS11hip_rocprim16__set_operations22lookback_set_op_kernelIN7rocprim17ROCPRIM_400000_NS13kernel_configILj256ELj16ELj4294967295EEELb0ENS0_6detail15normal_iteratorINS0_10device_ptrIKiEEEESD_PiSE_lNS9_INSA_IiEEEESE_NS0_4lessIiEENS2_31serial_set_symmetric_differenceENS5_6detail19lookback_scan_stateIlLb0ELb1EEEEEvT1_T2_T3_T4_T6_T7_T8_T9_PNS0_4pairIT5_SW_EEPSW_T10_NSK_16ordered_block_idIjEE.has_dyn_sized_stack, 0
	.set _ZN6thrust23THRUST_200600_302600_NS11hip_rocprim16__set_operations22lookback_set_op_kernelIN7rocprim17ROCPRIM_400000_NS13kernel_configILj256ELj16ELj4294967295EEELb0ENS0_6detail15normal_iteratorINS0_10device_ptrIKiEEEESD_PiSE_lNS9_INSA_IiEEEESE_NS0_4lessIiEENS2_31serial_set_symmetric_differenceENS5_6detail19lookback_scan_stateIlLb0ELb1EEEEEvT1_T2_T3_T4_T6_T7_T8_T9_PNS0_4pairIT5_SW_EEPSW_T10_NSK_16ordered_block_idIjEE.has_recursion, 0
	.set _ZN6thrust23THRUST_200600_302600_NS11hip_rocprim16__set_operations22lookback_set_op_kernelIN7rocprim17ROCPRIM_400000_NS13kernel_configILj256ELj16ELj4294967295EEELb0ENS0_6detail15normal_iteratorINS0_10device_ptrIKiEEEESD_PiSE_lNS9_INSA_IiEEEESE_NS0_4lessIiEENS2_31serial_set_symmetric_differenceENS5_6detail19lookback_scan_stateIlLb0ELb1EEEEEvT1_T2_T3_T4_T6_T7_T8_T9_PNS0_4pairIT5_SW_EEPSW_T10_NSK_16ordered_block_idIjEE.has_indirect_call, 0
	.section	.AMDGPU.csdata,"",@progbits
; Kernel info:
; codeLenInByte = 19940
; TotalNumSgprs: 86
; NumVgprs: 82
; NumAgprs: 0
; TotalNumVgprs: 82
; ScratchSize: 0
; MemoryBound: 0
; FloatMode: 240
; IeeeMode: 1
; LDSByteSize: 36868 bytes/workgroup (compile time only)
; SGPRBlocks: 12
; VGPRBlocks: 12
; NumSGPRsForWavesPerEU: 102
; NumVGPRsForWavesPerEU: 97
; AccumOffset: 84
; Occupancy: 4
; WaveLimiterHint : 1
; COMPUTE_PGM_RSRC2:SCRATCH_EN: 0
; COMPUTE_PGM_RSRC2:USER_SGPR: 2
; COMPUTE_PGM_RSRC2:TRAP_HANDLER: 0
; COMPUTE_PGM_RSRC2:TGID_X_EN: 1
; COMPUTE_PGM_RSRC2:TGID_Y_EN: 0
; COMPUTE_PGM_RSRC2:TGID_Z_EN: 0
; COMPUTE_PGM_RSRC2:TIDIG_COMP_CNT: 2
; COMPUTE_PGM_RSRC3_GFX90A:ACCUM_OFFSET: 20
; COMPUTE_PGM_RSRC3_GFX90A:TG_SPLIT: 0
	.section	.text._ZN6thrust23THRUST_200600_302600_NS11hip_rocprim14__parallel_for6kernelILj256EZNS1_16__set_operations9doit_stepILb0ENS0_6detail15normal_iteratorINS0_10device_ptrIKiEEEESB_PiSC_lNS0_16discard_iteratorINS0_11use_defaultEEESC_NS0_4lessIiEENS4_23serial_set_intersectionEEE10hipError_tPvRmT0_T1_T2_T3_T4_SQ_T5_T6_PSQ_T7_T8_P12ihipStream_tbEUllE_jLj1EEEvSM_SN_SN_,"axG",@progbits,_ZN6thrust23THRUST_200600_302600_NS11hip_rocprim14__parallel_for6kernelILj256EZNS1_16__set_operations9doit_stepILb0ENS0_6detail15normal_iteratorINS0_10device_ptrIKiEEEESB_PiSC_lNS0_16discard_iteratorINS0_11use_defaultEEESC_NS0_4lessIiEENS4_23serial_set_intersectionEEE10hipError_tPvRmT0_T1_T2_T3_T4_SQ_T5_T6_PSQ_T7_T8_P12ihipStream_tbEUllE_jLj1EEEvSM_SN_SN_,comdat
	.protected	_ZN6thrust23THRUST_200600_302600_NS11hip_rocprim14__parallel_for6kernelILj256EZNS1_16__set_operations9doit_stepILb0ENS0_6detail15normal_iteratorINS0_10device_ptrIKiEEEESB_PiSC_lNS0_16discard_iteratorINS0_11use_defaultEEESC_NS0_4lessIiEENS4_23serial_set_intersectionEEE10hipError_tPvRmT0_T1_T2_T3_T4_SQ_T5_T6_PSQ_T7_T8_P12ihipStream_tbEUllE_jLj1EEEvSM_SN_SN_ ; -- Begin function _ZN6thrust23THRUST_200600_302600_NS11hip_rocprim14__parallel_for6kernelILj256EZNS1_16__set_operations9doit_stepILb0ENS0_6detail15normal_iteratorINS0_10device_ptrIKiEEEESB_PiSC_lNS0_16discard_iteratorINS0_11use_defaultEEESC_NS0_4lessIiEENS4_23serial_set_intersectionEEE10hipError_tPvRmT0_T1_T2_T3_T4_SQ_T5_T6_PSQ_T7_T8_P12ihipStream_tbEUllE_jLj1EEEvSM_SN_SN_
	.globl	_ZN6thrust23THRUST_200600_302600_NS11hip_rocprim14__parallel_for6kernelILj256EZNS1_16__set_operations9doit_stepILb0ENS0_6detail15normal_iteratorINS0_10device_ptrIKiEEEESB_PiSC_lNS0_16discard_iteratorINS0_11use_defaultEEESC_NS0_4lessIiEENS4_23serial_set_intersectionEEE10hipError_tPvRmT0_T1_T2_T3_T4_SQ_T5_T6_PSQ_T7_T8_P12ihipStream_tbEUllE_jLj1EEEvSM_SN_SN_
	.p2align	8
	.type	_ZN6thrust23THRUST_200600_302600_NS11hip_rocprim14__parallel_for6kernelILj256EZNS1_16__set_operations9doit_stepILb0ENS0_6detail15normal_iteratorINS0_10device_ptrIKiEEEESB_PiSC_lNS0_16discard_iteratorINS0_11use_defaultEEESC_NS0_4lessIiEENS4_23serial_set_intersectionEEE10hipError_tPvRmT0_T1_T2_T3_T4_SQ_T5_T6_PSQ_T7_T8_P12ihipStream_tbEUllE_jLj1EEEvSM_SN_SN_,@function
_ZN6thrust23THRUST_200600_302600_NS11hip_rocprim14__parallel_for6kernelILj256EZNS1_16__set_operations9doit_stepILb0ENS0_6detail15normal_iteratorINS0_10device_ptrIKiEEEESB_PiSC_lNS0_16discard_iteratorINS0_11use_defaultEEESC_NS0_4lessIiEENS4_23serial_set_intersectionEEE10hipError_tPvRmT0_T1_T2_T3_T4_SQ_T5_T6_PSQ_T7_T8_P12ihipStream_tbEUllE_jLj1EEEvSM_SN_SN_: ; @_ZN6thrust23THRUST_200600_302600_NS11hip_rocprim14__parallel_for6kernelILj256EZNS1_16__set_operations9doit_stepILb0ENS0_6detail15normal_iteratorINS0_10device_ptrIKiEEEESB_PiSC_lNS0_16discard_iteratorINS0_11use_defaultEEESC_NS0_4lessIiEENS4_23serial_set_intersectionEEE10hipError_tPvRmT0_T1_T2_T3_T4_SQ_T5_T6_PSQ_T7_T8_P12ihipStream_tbEUllE_jLj1EEEvSM_SN_SN_
; %bb.0:
	s_load_dwordx2 s[14:15], s[0:1], 0x30
	s_load_dwordx2 s[12:13], s[0:1], 0x20
	s_load_dwordx8 s[4:11], s[0:1], 0x0
	s_lshl_b32 s0, s2, 8
	s_waitcnt lgkmcnt(0)
	s_add_i32 s18, s15, s0
	s_sub_i32 s2, s14, s18
	s_cmpk_gt_u32 s2, 0xff
	s_mov_b64 s[0:1], -1
	s_cbranch_scc0 .LBB28_3
; %bb.1:
	s_andn2_b64 vcc, exec, s[0:1]
	s_cbranch_vccz .LBB28_40
.LBB28_2:
	s_endpgm
.LBB28_3:
	v_cmp_gt_u32_e32 vcc, s2, v0
	s_and_saveexec_b64 s[2:3], vcc
	s_cbranch_execz .LBB28_39
; %bb.4:
	v_add_u32_e32 v4, s18, v0
	s_movk_i32 s0, 0xfff
	v_mad_u64_u32 v[2:3], s[0:1], v4, s0, 0
	s_add_u32 s0, s6, s4
	s_addc_u32 s1, s7, s5
	v_mov_b32_e32 v1, s1
	v_cmp_lt_i64_e32 vcc, s[0:1], v[2:3]
	v_mov_b32_e32 v5, 0
	s_nop 0
	v_cndmask_b32_e32 v7, v3, v1, vcc
	v_mov_b32_e32 v1, s0
	v_cndmask_b32_e32 v6, v2, v1, vcc
	v_mov_b32_e32 v1, s7
	v_subrev_co_u32_e32 v2, vcc, s6, v6
	s_mov_b64 s[0:1], 0
	s_nop 0
	v_subb_co_u32_e32 v3, vcc, v7, v1, vcc
	v_cmp_lt_i64_e32 vcc, 0, v[2:3]
	v_mov_b32_e32 v1, s5
	s_nop 0
	v_cndmask_b32_e32 v3, 0, v3, vcc
	v_cndmask_b32_e32 v2, 0, v2, vcc
	v_cmp_lt_i64_e32 vcc, s[4:5], v[6:7]
	s_nop 1
	v_cndmask_b32_e32 v9, v7, v1, vcc
	v_mov_b32_e32 v1, s4
	v_cndmask_b32_e32 v8, v6, v1, vcc
	v_cmp_lt_i64_e32 vcc, v[2:3], v[8:9]
	s_and_saveexec_b64 s[14:15], vcc
	s_cbranch_execz .LBB28_8
; %bb.5:
	v_lshl_add_u64 v[10:11], v[6:7], 2, s[12:13]
.LBB28_6:                               ; =>This Inner Loop Header: Depth=1
	v_lshl_add_u64 v[12:13], v[8:9], 0, v[2:3]
	v_lshrrev_b64 v[12:13], 1, v[12:13]
	v_lshlrev_b64 v[14:15], 2, v[12:13]
	v_lshl_add_u64 v[16:17], s[10:11], 0, v[14:15]
	v_xor_b32_e32 v15, -1, v15
	v_xor_b32_e32 v14, -4, v14
	v_lshl_add_u64 v[14:15], v[10:11], 0, v[14:15]
	global_load_dword v1, v[16:17], off
	s_nop 0
	global_load_dword v16, v[14:15], off
	v_lshl_add_u64 v[14:15], v[12:13], 0, 1
	s_waitcnt vmcnt(0)
	v_cmp_lt_i32_e32 vcc, v16, v1
	s_nop 1
	v_cndmask_b32_e32 v9, v9, v13, vcc
	v_cndmask_b32_e32 v8, v8, v12, vcc
	;; [unrolled: 1-line block ×4, first 2 shown]
	v_cmp_ge_i64_e32 vcc, v[2:3], v[8:9]
	s_or_b64 s[0:1], vcc, s[0:1]
	s_andn2_b64 exec, exec, s[0:1]
	s_cbranch_execnz .LBB28_6
; %bb.7:
	s_or_b64 exec, exec, s[0:1]
.LBB28_8:
	s_or_b64 exec, exec, s[14:15]
	v_sub_co_u32_e32 v12, vcc, v6, v2
	v_mov_b64_e32 v[10:11], 0
	s_nop 0
	v_subb_co_u32_e32 v13, vcc, v7, v3, vcc
	v_cmp_gt_i64_e32 vcc, s[6:7], v[12:13]
	s_and_saveexec_b64 s[14:15], vcc
	s_cbranch_execz .LBB28_38
; %bb.9:
	v_lshl_add_u64 v[10:11], v[12:13], 2, s[12:13]
	global_load_dword v1, v[10:11], off
	v_mov_b64_e32 v[8:9], 0
	v_cmp_lt_i64_e32 vcc, 0, v[2:3]
	v_mov_b64_e32 v[14:15], 0
	s_and_saveexec_b64 s[0:1], vcc
	s_cbranch_execnz .LBB28_14
; %bb.10:
	s_or_b64 exec, exec, s[0:1]
	v_cmp_lt_u64_e32 vcc, v[8:9], v[14:15]
	s_and_saveexec_b64 s[0:1], vcc
	s_cbranch_execnz .LBB28_15
.LBB28_11:
	s_or_b64 exec, exec, s[0:1]
	v_cmp_lt_u64_e32 vcc, v[8:9], v[14:15]
	s_and_saveexec_b64 s[0:1], vcc
	s_cbranch_execnz .LBB28_16
.LBB28_12:
	s_or_b64 exec, exec, s[0:1]
	v_cmp_lt_u64_e32 vcc, v[8:9], v[14:15]
	s_and_saveexec_b64 s[0:1], vcc
	s_cbranch_execnz .LBB28_17
.LBB28_13:
	s_or_b64 exec, exec, s[0:1]
	v_cmp_lt_u64_e32 vcc, v[8:9], v[14:15]
	s_and_saveexec_b64 s[0:1], vcc
	s_cbranch_execnz .LBB28_18
	s_branch .LBB28_21
.LBB28_14:
	s_movk_i32 s19, 0x1ff
	v_mad_u64_u32 v[8:9], s[16:17], v2, s19, 0
	v_mov_b32_e32 v14, v9
	v_mad_u64_u32 v[14:15], s[16:17], v3, s19, v[14:15]
	v_mov_b32_e32 v9, v14
	v_lshrrev_b64 v[14:15], 9, v[8:9]
	v_lshl_add_u64 v[8:9], v[14:15], 2, s[10:11]
	global_load_dword v16, v[8:9], off
	v_lshl_add_u64 v[8:9], v[14:15], 0, 1
	s_waitcnt vmcnt(0)
	v_cmp_lt_i32_e32 vcc, v16, v1
	s_nop 1
	v_cndmask_b32_e32 v9, 0, v9, vcc
	v_cndmask_b32_e32 v8, 0, v8, vcc
	;; [unrolled: 1-line block ×4, first 2 shown]
	s_or_b64 exec, exec, s[0:1]
	v_cmp_lt_u64_e32 vcc, v[8:9], v[14:15]
	s_and_saveexec_b64 s[0:1], vcc
	s_cbranch_execz .LBB28_11
.LBB28_15:
	s_movk_i32 s19, 0x7f
	v_mad_u64_u32 v[16:17], s[16:17], v14, s19, v[8:9]
	v_mov_b32_e32 v18, v17
	v_mad_u64_u32 v[18:19], s[16:17], v15, s19, v[18:19]
	v_mov_b32_e32 v17, v18
	v_lshrrev_b64 v[16:17], 7, v[16:17]
	v_lshl_add_u64 v[18:19], v[16:17], 2, s[10:11]
	global_load_dword v20, v[18:19], off
	v_lshl_add_u64 v[18:19], v[16:17], 0, 1
	s_waitcnt vmcnt(0)
	v_cmp_lt_i32_e32 vcc, v20, v1
	s_nop 1
	v_cndmask_b32_e32 v9, v9, v19, vcc
	v_cndmask_b32_e32 v8, v8, v18, vcc
	;; [unrolled: 1-line block ×4, first 2 shown]
	s_or_b64 exec, exec, s[0:1]
	v_cmp_lt_u64_e32 vcc, v[8:9], v[14:15]
	s_and_saveexec_b64 s[0:1], vcc
	s_cbranch_execz .LBB28_12
.LBB28_16:
	v_mad_u64_u32 v[16:17], s[16:17], v14, 31, v[8:9]
	v_mov_b32_e32 v18, v17
	v_mad_u64_u32 v[18:19], s[16:17], v15, 31, v[18:19]
	v_mov_b32_e32 v17, v18
	v_lshrrev_b64 v[16:17], 5, v[16:17]
	v_lshl_add_u64 v[18:19], v[16:17], 2, s[10:11]
	global_load_dword v20, v[18:19], off
	v_lshl_add_u64 v[18:19], v[16:17], 0, 1
	s_waitcnt vmcnt(0)
	v_cmp_lt_i32_e32 vcc, v20, v1
	s_nop 1
	v_cndmask_b32_e32 v9, v9, v19, vcc
	v_cndmask_b32_e32 v8, v8, v18, vcc
	;; [unrolled: 1-line block ×4, first 2 shown]
	s_or_b64 exec, exec, s[0:1]
	v_cmp_lt_u64_e32 vcc, v[8:9], v[14:15]
	s_and_saveexec_b64 s[0:1], vcc
	s_cbranch_execz .LBB28_13
.LBB28_17:
	v_mad_u64_u32 v[16:17], s[16:17], v14, 15, v[8:9]
	v_mov_b32_e32 v18, v17
	v_mad_u64_u32 v[18:19], s[16:17], v15, 15, v[18:19]
	v_mov_b32_e32 v17, v18
	v_lshrrev_b64 v[16:17], 4, v[16:17]
	v_lshl_add_u64 v[18:19], v[16:17], 2, s[10:11]
	global_load_dword v20, v[18:19], off
	v_lshl_add_u64 v[18:19], v[16:17], 0, 1
	s_waitcnt vmcnt(0)
	v_cmp_lt_i32_e32 vcc, v20, v1
	s_nop 1
	v_cndmask_b32_e32 v9, v9, v19, vcc
	v_cndmask_b32_e32 v8, v8, v18, vcc
	;; [unrolled: 1-line block ×4, first 2 shown]
	s_or_b64 exec, exec, s[0:1]
	v_cmp_lt_u64_e32 vcc, v[8:9], v[14:15]
	s_and_saveexec_b64 s[0:1], vcc
	s_cbranch_execz .LBB28_21
.LBB28_18:
	s_mov_b64 s[16:17], 0
.LBB28_19:                              ; =>This Inner Loop Header: Depth=1
	v_lshl_add_u64 v[16:17], v[8:9], 0, v[14:15]
	v_lshrrev_b64 v[16:17], 1, v[16:17]
	v_lshl_add_u64 v[18:19], v[16:17], 2, s[10:11]
	global_load_dword v20, v[18:19], off
	v_lshl_add_u64 v[18:19], v[16:17], 0, 1
	s_waitcnt vmcnt(0)
	v_cmp_lt_i32_e32 vcc, v20, v1
	s_nop 1
	v_cndmask_b32_e32 v9, v9, v19, vcc
	v_cndmask_b32_e32 v8, v8, v18, vcc
	v_cndmask_b32_e32 v15, v17, v15, vcc
	v_cndmask_b32_e32 v14, v16, v14, vcc
	v_cmp_ge_i64_e32 vcc, v[8:9], v[14:15]
	s_or_b64 s[16:17], vcc, s[16:17]
	s_andn2_b64 exec, exec, s[16:17]
	s_cbranch_execnz .LBB28_19
; %bb.20:
	s_or_b64 exec, exec, s[16:17]
.LBB28_21:
	s_or_b64 exec, exec, s[0:1]
	v_mov_b64_e32 v[14:15], 0
	v_cmp_lt_i64_e32 vcc, 0, v[12:13]
	v_mov_b64_e32 v[16:17], v[12:13]
	s_and_saveexec_b64 s[0:1], vcc
	s_cbranch_execnz .LBB28_26
; %bb.22:
	s_or_b64 exec, exec, s[0:1]
	v_cmp_lt_i64_e32 vcc, v[14:15], v[16:17]
	s_and_saveexec_b64 s[0:1], vcc
	s_cbranch_execnz .LBB28_27
.LBB28_23:
	s_or_b64 exec, exec, s[0:1]
	v_cmp_lt_i64_e32 vcc, v[14:15], v[16:17]
	s_and_saveexec_b64 s[0:1], vcc
	s_cbranch_execnz .LBB28_28
.LBB28_24:
	s_or_b64 exec, exec, s[0:1]
	v_cmp_lt_i64_e32 vcc, v[14:15], v[16:17]
	s_and_saveexec_b64 s[0:1], vcc
	s_cbranch_execnz .LBB28_29
.LBB28_25:
	s_or_b64 exec, exec, s[0:1]
	v_cmp_lt_i64_e32 vcc, v[14:15], v[16:17]
	s_and_saveexec_b64 s[0:1], vcc
	s_cbranch_execnz .LBB28_30
	s_branch .LBB28_33
.LBB28_26:
	s_movk_i32 s19, 0x1ff
	v_mad_u64_u32 v[14:15], s[16:17], v12, s19, 0
	v_mov_b32_e32 v16, v15
	v_mad_u64_u32 v[16:17], s[16:17], v13, s19, v[16:17]
	v_mov_b32_e32 v15, v16
	v_lshrrev_b64 v[16:17], 9, v[14:15]
	v_lshl_add_u64 v[14:15], v[16:17], 2, s[12:13]
	global_load_dword v18, v[14:15], off
	v_lshl_add_u64 v[14:15], v[16:17], 0, 1
	s_waitcnt vmcnt(0)
	v_cmp_lt_i32_e32 vcc, v18, v1
	s_nop 1
	v_cndmask_b32_e32 v15, 0, v15, vcc
	v_cndmask_b32_e32 v14, 0, v14, vcc
	;; [unrolled: 1-line block ×4, first 2 shown]
	s_or_b64 exec, exec, s[0:1]
	v_cmp_lt_i64_e32 vcc, v[14:15], v[16:17]
	s_and_saveexec_b64 s[0:1], vcc
	s_cbranch_execz .LBB28_23
.LBB28_27:
	s_movk_i32 s19, 0x7f
	v_mad_u64_u32 v[18:19], s[16:17], v16, s19, v[14:15]
	v_mov_b32_e32 v20, v19
	v_mad_u64_u32 v[20:21], s[16:17], v17, s19, v[20:21]
	v_mov_b32_e32 v19, v20
	v_lshrrev_b64 v[18:19], 7, v[18:19]
	v_lshl_add_u64 v[20:21], v[18:19], 2, s[12:13]
	global_load_dword v22, v[20:21], off
	v_lshl_add_u64 v[20:21], v[18:19], 0, 1
	s_waitcnt vmcnt(0)
	v_cmp_lt_i32_e32 vcc, v22, v1
	s_nop 1
	v_cndmask_b32_e32 v15, v15, v21, vcc
	v_cndmask_b32_e32 v14, v14, v20, vcc
	;; [unrolled: 1-line block ×4, first 2 shown]
	s_or_b64 exec, exec, s[0:1]
	v_cmp_lt_i64_e32 vcc, v[14:15], v[16:17]
	s_and_saveexec_b64 s[0:1], vcc
	s_cbranch_execz .LBB28_24
.LBB28_28:
	v_mad_u64_u32 v[18:19], s[16:17], v16, 31, v[14:15]
	v_mov_b32_e32 v20, v19
	v_mad_u64_u32 v[20:21], s[16:17], v17, 31, v[20:21]
	v_mov_b32_e32 v19, v20
	v_lshrrev_b64 v[18:19], 5, v[18:19]
	v_lshl_add_u64 v[20:21], v[18:19], 2, s[12:13]
	global_load_dword v22, v[20:21], off
	v_lshl_add_u64 v[20:21], v[18:19], 0, 1
	s_waitcnt vmcnt(0)
	v_cmp_lt_i32_e32 vcc, v22, v1
	s_nop 1
	v_cndmask_b32_e32 v15, v15, v21, vcc
	v_cndmask_b32_e32 v14, v14, v20, vcc
	;; [unrolled: 1-line block ×4, first 2 shown]
	s_or_b64 exec, exec, s[0:1]
	v_cmp_lt_i64_e32 vcc, v[14:15], v[16:17]
	s_and_saveexec_b64 s[0:1], vcc
	s_cbranch_execz .LBB28_25
.LBB28_29:
	v_mad_u64_u32 v[18:19], s[16:17], v16, 15, v[14:15]
	v_mov_b32_e32 v20, v19
	v_mad_u64_u32 v[20:21], s[16:17], v17, 15, v[20:21]
	v_mov_b32_e32 v19, v20
	v_lshrrev_b64 v[18:19], 4, v[18:19]
	v_lshl_add_u64 v[20:21], v[18:19], 2, s[12:13]
	global_load_dword v22, v[20:21], off
	v_lshl_add_u64 v[20:21], v[18:19], 0, 1
	s_waitcnt vmcnt(0)
	v_cmp_lt_i32_e32 vcc, v22, v1
	s_nop 1
	v_cndmask_b32_e32 v15, v15, v21, vcc
	v_cndmask_b32_e32 v14, v14, v20, vcc
	;; [unrolled: 1-line block ×4, first 2 shown]
	s_or_b64 exec, exec, s[0:1]
	v_cmp_lt_i64_e32 vcc, v[14:15], v[16:17]
	s_and_saveexec_b64 s[0:1], vcc
	s_cbranch_execz .LBB28_33
.LBB28_30:
	s_mov_b64 s[16:17], 0
.LBB28_31:                              ; =>This Inner Loop Header: Depth=1
	v_lshl_add_u64 v[18:19], v[14:15], 0, v[16:17]
	v_lshrrev_b64 v[18:19], 1, v[18:19]
	v_lshl_add_u64 v[20:21], v[18:19], 2, s[12:13]
	global_load_dword v22, v[20:21], off
	v_lshl_add_u64 v[20:21], v[18:19], 0, 1
	s_waitcnt vmcnt(0)
	v_cmp_lt_i32_e32 vcc, v22, v1
	s_nop 1
	v_cndmask_b32_e32 v15, v15, v21, vcc
	v_cndmask_b32_e32 v14, v14, v20, vcc
	;; [unrolled: 1-line block ×4, first 2 shown]
	v_cmp_ge_i64_e32 vcc, v[14:15], v[16:17]
	s_or_b64 s[16:17], vcc, s[16:17]
	s_andn2_b64 exec, exec, s[16:17]
	s_cbranch_execnz .LBB28_31
; %bb.32:
	s_or_b64 exec, exec, s[16:17]
.LBB28_33:
	s_or_b64 exec, exec, s[0:1]
	v_sub_co_u32_e32 v2, vcc, v2, v8
	v_mov_b32_e32 v20, s7
	s_nop 0
	v_subb_co_u32_e32 v3, vcc, v3, v9, vcc
	v_sub_co_u32_e32 v18, vcc, v12, v14
	s_nop 1
	v_subb_co_u32_e32 v19, vcc, v13, v15, vcc
	v_lshl_add_u64 v[16:17], v[18:19], 0, v[2:3]
	v_ashrrev_i64 v[2:3], 1, v[16:17]
	v_cmp_gt_i64_e32 vcc, v[2:3], v[18:19]
	s_nop 1
	v_cndmask_b32_e32 v3, v19, v3, vcc
	v_cndmask_b32_e32 v2, v18, v2, vcc
	v_lshl_add_u64 v[14:15], v[14:15], 0, v[2:3]
	v_lshl_add_u64 v[14:15], v[14:15], 0, 1
	v_cmp_gt_i64_e32 vcc, s[6:7], v[14:15]
	s_nop 1
	v_cndmask_b32_e32 v15, v20, v15, vcc
	v_mov_b32_e32 v20, s6
	v_cndmask_b32_e32 v14, v20, v14, vcc
	v_sub_co_u32_e32 v14, vcc, v14, v12
	s_nop 1
	v_subb_co_u32_e32 v15, vcc, v15, v13, vcc
	v_mov_b64_e32 v[12:13], 0
	v_cmp_lt_i64_e32 vcc, 0, v[14:15]
	s_and_saveexec_b64 s[0:1], vcc
	s_cbranch_execz .LBB28_37
; %bb.34:
	s_mov_b64 s[16:17], 0
	v_mov_b64_e32 v[12:13], 0
.LBB28_35:                              ; =>This Inner Loop Header: Depth=1
	v_lshl_add_u64 v[20:21], v[12:13], 0, v[14:15]
	v_lshrrev_b64 v[20:21], 1, v[20:21]
	v_lshl_add_u64 v[22:23], v[20:21], 2, v[10:11]
	global_load_dword v24, v[22:23], off
	v_lshl_add_u64 v[22:23], v[20:21], 0, 1
	s_waitcnt vmcnt(0)
	v_cmp_lt_i32_e32 vcc, v1, v24
	s_nop 1
	v_cndmask_b32_e32 v13, v23, v13, vcc
	v_cndmask_b32_e32 v12, v22, v12, vcc
	;; [unrolled: 1-line block ×4, first 2 shown]
	v_cmp_ge_i64_e32 vcc, v[12:13], v[14:15]
	s_or_b64 s[16:17], vcc, s[16:17]
	s_andn2_b64 exec, exec, s[16:17]
	s_cbranch_execnz .LBB28_35
; %bb.36:
	s_or_b64 exec, exec, s[16:17]
	v_ashrrev_i32_e32 v13, 31, v12
.LBB28_37:
	s_or_b64 exec, exec, s[0:1]
	v_lshl_add_u64 v[10:11], v[12:13], 0, v[18:19]
	v_cmp_lt_i64_e32 vcc, v[10:11], v[2:3]
	v_cmp_lt_i64_e64 s[0:1], v[2:3], v[10:11]
	s_nop 0
	v_cndmask_b32_e32 v12, v2, v10, vcc
	v_cndmask_b32_e32 v13, v3, v11, vcc
	v_sub_co_u32_e32 v14, vcc, v16, v12
	s_nop 1
	v_subb_co_u32_e32 v15, vcc, v17, v13, vcc
	v_lshl_add_u64 v[12:13], v[12:13], 0, 1
	v_cmp_eq_u64_e32 vcc, v[14:15], v[12:13]
	s_and_b64 s[0:1], vcc, s[0:1]
	v_cndmask_b32_e64 v10, 0, 1, s[0:1]
	s_mov_b32 s0, 0
	v_mov_b32_e32 v11, s0
	v_lshl_add_u64 v[2:3], v[14:15], 0, v[8:9]
.LBB28_38:
	s_or_b64 exec, exec, s[14:15]
	v_lshl_add_u64 v[8:9], v[4:5], 4, s[8:9]
	v_lshl_add_u64 v[4:5], v[10:11], 0, v[6:7]
	v_sub_co_u32_e32 v4, vcc, v4, v2
	s_nop 1
	v_subb_co_u32_e32 v5, vcc, v5, v3, vcc
	global_store_dwordx4 v[8:9], v[2:5], off
.LBB28_39:
	s_or_b64 exec, exec, s[2:3]
	s_cbranch_execnz .LBB28_2
.LBB28_40:
	v_add_u32_e32 v2, s18, v0
	s_movk_i32 s0, 0xfff
	s_waitcnt vmcnt(1)
	v_mad_u64_u32 v[0:1], s[0:1], v2, s0, 0
	s_add_u32 s0, s6, s4
	s_addc_u32 s1, s7, s5
	v_mov_b32_e32 v4, s1
	v_cmp_lt_i64_e32 vcc, s[0:1], v[0:1]
	v_mov_b32_e32 v6, s5
	v_mov_b32_e32 v3, 0
	v_cndmask_b32_e32 v5, v1, v4, vcc
	v_mov_b32_e32 v1, s0
	v_cndmask_b32_e32 v4, v0, v1, vcc
	v_mov_b32_e32 v1, s7
	v_subrev_co_u32_e32 v0, vcc, s6, v4
	s_mov_b64 s[0:1], 0
	s_nop 0
	v_subb_co_u32_e32 v1, vcc, v5, v1, vcc
	v_cmp_lt_i64_e32 vcc, 0, v[0:1]
	s_nop 1
	v_cndmask_b32_e32 v1, 0, v1, vcc
	v_cndmask_b32_e32 v0, 0, v0, vcc
	v_cmp_lt_i64_e32 vcc, s[4:5], v[4:5]
	s_nop 1
	v_cndmask_b32_e32 v7, v5, v6, vcc
	v_mov_b32_e32 v6, s4
	v_cndmask_b32_e32 v6, v4, v6, vcc
	v_cmp_lt_i64_e32 vcc, v[0:1], v[6:7]
	s_and_saveexec_b64 s[2:3], vcc
	s_cbranch_execz .LBB28_44
; %bb.41:
	v_lshl_add_u64 v[8:9], v[4:5], 2, s[12:13]
.LBB28_42:                              ; =>This Inner Loop Header: Depth=1
	v_lshl_add_u64 v[10:11], v[6:7], 0, v[0:1]
	v_lshrrev_b64 v[10:11], 1, v[10:11]
	v_lshlrev_b64 v[12:13], 2, v[10:11]
	v_lshl_add_u64 v[14:15], s[10:11], 0, v[12:13]
	v_xor_b32_e32 v13, -1, v13
	v_xor_b32_e32 v12, -4, v12
	v_lshl_add_u64 v[12:13], v[8:9], 0, v[12:13]
	global_load_dword v14, v[14:15], off
	s_nop 0
	global_load_dword v15, v[12:13], off
	v_lshl_add_u64 v[12:13], v[10:11], 0, 1
	s_waitcnt vmcnt(0)
	v_cmp_lt_i32_e32 vcc, v15, v14
	s_nop 1
	v_cndmask_b32_e32 v7, v7, v11, vcc
	v_cndmask_b32_e32 v6, v6, v10, vcc
	;; [unrolled: 1-line block ×4, first 2 shown]
	v_cmp_ge_i64_e32 vcc, v[0:1], v[6:7]
	s_or_b64 s[0:1], vcc, s[0:1]
	s_andn2_b64 exec, exec, s[0:1]
	s_cbranch_execnz .LBB28_42
; %bb.43:
	s_or_b64 exec, exec, s[0:1]
.LBB28_44:
	s_or_b64 exec, exec, s[2:3]
	v_sub_co_u32_e32 v10, vcc, v4, v0
	v_mov_b64_e32 v[8:9], 0
	s_nop 0
	v_subb_co_u32_e32 v11, vcc, v5, v1, vcc
	v_cmp_gt_i64_e32 vcc, s[6:7], v[10:11]
	s_and_saveexec_b64 s[2:3], vcc
	s_cbranch_execz .LBB28_74
; %bb.45:
	v_lshl_add_u64 v[8:9], v[10:11], 2, s[12:13]
	global_load_dword v18, v[8:9], off
	v_mov_b64_e32 v[6:7], 0
	v_cmp_lt_i64_e32 vcc, 0, v[0:1]
	v_mov_b64_e32 v[12:13], 0
	s_and_saveexec_b64 s[0:1], vcc
	s_cbranch_execnz .LBB28_50
; %bb.46:
	s_or_b64 exec, exec, s[0:1]
	v_cmp_lt_u64_e32 vcc, v[6:7], v[12:13]
	s_and_saveexec_b64 s[0:1], vcc
	s_cbranch_execnz .LBB28_51
.LBB28_47:
	s_or_b64 exec, exec, s[0:1]
	v_cmp_lt_u64_e32 vcc, v[6:7], v[12:13]
	s_and_saveexec_b64 s[0:1], vcc
	s_cbranch_execnz .LBB28_52
.LBB28_48:
	s_or_b64 exec, exec, s[0:1]
	v_cmp_lt_u64_e32 vcc, v[6:7], v[12:13]
	s_and_saveexec_b64 s[0:1], vcc
	s_cbranch_execnz .LBB28_53
.LBB28_49:
	s_or_b64 exec, exec, s[0:1]
	v_cmp_lt_u64_e32 vcc, v[6:7], v[12:13]
	s_and_saveexec_b64 s[0:1], vcc
	s_cbranch_execnz .LBB28_54
	s_branch .LBB28_57
.LBB28_50:
	s_movk_i32 s14, 0x1ff
	v_mad_u64_u32 v[6:7], s[4:5], v0, s14, 0
	v_mov_b32_e32 v12, v7
	v_mad_u64_u32 v[12:13], s[4:5], v1, s14, v[12:13]
	v_mov_b32_e32 v7, v12
	v_lshrrev_b64 v[12:13], 9, v[6:7]
	v_lshl_add_u64 v[6:7], v[12:13], 2, s[10:11]
	global_load_dword v14, v[6:7], off
	v_lshl_add_u64 v[6:7], v[12:13], 0, 1
	s_waitcnt vmcnt(0)
	v_cmp_lt_i32_e32 vcc, v14, v18
	s_nop 1
	v_cndmask_b32_e32 v7, 0, v7, vcc
	v_cndmask_b32_e32 v6, 0, v6, vcc
	;; [unrolled: 1-line block ×4, first 2 shown]
	s_or_b64 exec, exec, s[0:1]
	v_cmp_lt_u64_e32 vcc, v[6:7], v[12:13]
	s_and_saveexec_b64 s[0:1], vcc
	s_cbranch_execz .LBB28_47
.LBB28_51:
	s_movk_i32 s14, 0x7f
	v_mad_u64_u32 v[14:15], s[4:5], v12, s14, v[6:7]
	v_mov_b32_e32 v16, v15
	v_mad_u64_u32 v[16:17], s[4:5], v13, s14, v[16:17]
	v_mov_b32_e32 v15, v16
	v_lshrrev_b64 v[14:15], 7, v[14:15]
	v_lshl_add_u64 v[16:17], v[14:15], 2, s[10:11]
	global_load_dword v19, v[16:17], off
	v_lshl_add_u64 v[16:17], v[14:15], 0, 1
	s_waitcnt vmcnt(0)
	v_cmp_lt_i32_e32 vcc, v19, v18
	s_nop 1
	v_cndmask_b32_e32 v7, v7, v17, vcc
	v_cndmask_b32_e32 v6, v6, v16, vcc
	;; [unrolled: 1-line block ×4, first 2 shown]
	s_or_b64 exec, exec, s[0:1]
	v_cmp_lt_u64_e32 vcc, v[6:7], v[12:13]
	s_and_saveexec_b64 s[0:1], vcc
	s_cbranch_execz .LBB28_48
.LBB28_52:
	v_mad_u64_u32 v[14:15], s[4:5], v12, 31, v[6:7]
	v_mov_b32_e32 v16, v15
	v_mad_u64_u32 v[16:17], s[4:5], v13, 31, v[16:17]
	v_mov_b32_e32 v15, v16
	v_lshrrev_b64 v[14:15], 5, v[14:15]
	v_lshl_add_u64 v[16:17], v[14:15], 2, s[10:11]
	global_load_dword v19, v[16:17], off
	v_lshl_add_u64 v[16:17], v[14:15], 0, 1
	s_waitcnt vmcnt(0)
	v_cmp_lt_i32_e32 vcc, v19, v18
	s_nop 1
	v_cndmask_b32_e32 v7, v7, v17, vcc
	v_cndmask_b32_e32 v6, v6, v16, vcc
	;; [unrolled: 1-line block ×4, first 2 shown]
	s_or_b64 exec, exec, s[0:1]
	v_cmp_lt_u64_e32 vcc, v[6:7], v[12:13]
	s_and_saveexec_b64 s[0:1], vcc
	s_cbranch_execz .LBB28_49
.LBB28_53:
	v_mad_u64_u32 v[14:15], s[4:5], v12, 15, v[6:7]
	v_mov_b32_e32 v16, v15
	v_mad_u64_u32 v[16:17], s[4:5], v13, 15, v[16:17]
	v_mov_b32_e32 v15, v16
	v_lshrrev_b64 v[14:15], 4, v[14:15]
	v_lshl_add_u64 v[16:17], v[14:15], 2, s[10:11]
	global_load_dword v19, v[16:17], off
	v_lshl_add_u64 v[16:17], v[14:15], 0, 1
	s_waitcnt vmcnt(0)
	v_cmp_lt_i32_e32 vcc, v19, v18
	s_nop 1
	v_cndmask_b32_e32 v7, v7, v17, vcc
	v_cndmask_b32_e32 v6, v6, v16, vcc
	;; [unrolled: 1-line block ×4, first 2 shown]
	s_or_b64 exec, exec, s[0:1]
	v_cmp_lt_u64_e32 vcc, v[6:7], v[12:13]
	s_and_saveexec_b64 s[0:1], vcc
	s_cbranch_execz .LBB28_57
.LBB28_54:
	s_mov_b64 s[4:5], 0
.LBB28_55:                              ; =>This Inner Loop Header: Depth=1
	v_lshl_add_u64 v[14:15], v[6:7], 0, v[12:13]
	v_lshrrev_b64 v[14:15], 1, v[14:15]
	v_lshl_add_u64 v[16:17], v[14:15], 2, s[10:11]
	global_load_dword v19, v[16:17], off
	v_lshl_add_u64 v[16:17], v[14:15], 0, 1
	s_waitcnt vmcnt(0)
	v_cmp_lt_i32_e32 vcc, v19, v18
	s_nop 1
	v_cndmask_b32_e32 v7, v7, v17, vcc
	v_cndmask_b32_e32 v6, v6, v16, vcc
	;; [unrolled: 1-line block ×4, first 2 shown]
	v_cmp_ge_i64_e32 vcc, v[6:7], v[12:13]
	s_or_b64 s[4:5], vcc, s[4:5]
	s_andn2_b64 exec, exec, s[4:5]
	s_cbranch_execnz .LBB28_55
; %bb.56:
	s_or_b64 exec, exec, s[4:5]
.LBB28_57:
	s_or_b64 exec, exec, s[0:1]
	v_mov_b64_e32 v[12:13], 0
	v_cmp_lt_i64_e32 vcc, 0, v[10:11]
	v_mov_b64_e32 v[14:15], v[10:11]
	s_and_saveexec_b64 s[0:1], vcc
	s_cbranch_execnz .LBB28_62
; %bb.58:
	s_or_b64 exec, exec, s[0:1]
	v_cmp_lt_i64_e32 vcc, v[12:13], v[14:15]
	s_and_saveexec_b64 s[0:1], vcc
	s_cbranch_execnz .LBB28_63
.LBB28_59:
	s_or_b64 exec, exec, s[0:1]
	v_cmp_lt_i64_e32 vcc, v[12:13], v[14:15]
	s_and_saveexec_b64 s[0:1], vcc
	s_cbranch_execnz .LBB28_64
.LBB28_60:
	s_or_b64 exec, exec, s[0:1]
	v_cmp_lt_i64_e32 vcc, v[12:13], v[14:15]
	s_and_saveexec_b64 s[0:1], vcc
	s_cbranch_execnz .LBB28_65
.LBB28_61:
	s_or_b64 exec, exec, s[0:1]
	v_cmp_lt_i64_e32 vcc, v[12:13], v[14:15]
	s_and_saveexec_b64 s[0:1], vcc
	s_cbranch_execnz .LBB28_66
	s_branch .LBB28_69
.LBB28_62:
	s_movk_i32 s10, 0x1ff
	v_mad_u64_u32 v[12:13], s[4:5], v10, s10, 0
	v_mov_b32_e32 v14, v13
	v_mad_u64_u32 v[14:15], s[4:5], v11, s10, v[14:15]
	v_mov_b32_e32 v13, v14
	v_lshrrev_b64 v[14:15], 9, v[12:13]
	v_lshl_add_u64 v[12:13], v[14:15], 2, s[12:13]
	global_load_dword v16, v[12:13], off
	v_lshl_add_u64 v[12:13], v[14:15], 0, 1
	s_waitcnt vmcnt(0)
	v_cmp_lt_i32_e32 vcc, v16, v18
	s_nop 1
	v_cndmask_b32_e32 v13, 0, v13, vcc
	v_cndmask_b32_e32 v12, 0, v12, vcc
	;; [unrolled: 1-line block ×4, first 2 shown]
	s_or_b64 exec, exec, s[0:1]
	v_cmp_lt_i64_e32 vcc, v[12:13], v[14:15]
	s_and_saveexec_b64 s[0:1], vcc
	s_cbranch_execz .LBB28_59
.LBB28_63:
	s_movk_i32 s10, 0x7f
	v_mad_u64_u32 v[16:17], s[4:5], v14, s10, v[12:13]
	v_mov_b32_e32 v20, v17
	v_mad_u64_u32 v[20:21], s[4:5], v15, s10, v[20:21]
	v_mov_b32_e32 v17, v20
	v_lshrrev_b64 v[16:17], 7, v[16:17]
	v_lshl_add_u64 v[20:21], v[16:17], 2, s[12:13]
	global_load_dword v19, v[20:21], off
	v_lshl_add_u64 v[20:21], v[16:17], 0, 1
	s_waitcnt vmcnt(0)
	v_cmp_lt_i32_e32 vcc, v19, v18
	s_nop 1
	v_cndmask_b32_e32 v13, v13, v21, vcc
	v_cndmask_b32_e32 v12, v12, v20, vcc
	;; [unrolled: 1-line block ×4, first 2 shown]
	s_or_b64 exec, exec, s[0:1]
	v_cmp_lt_i64_e32 vcc, v[12:13], v[14:15]
	s_and_saveexec_b64 s[0:1], vcc
	s_cbranch_execz .LBB28_60
.LBB28_64:
	v_mad_u64_u32 v[16:17], s[4:5], v14, 31, v[12:13]
	v_mov_b32_e32 v20, v17
	v_mad_u64_u32 v[20:21], s[4:5], v15, 31, v[20:21]
	v_mov_b32_e32 v17, v20
	v_lshrrev_b64 v[16:17], 5, v[16:17]
	v_lshl_add_u64 v[20:21], v[16:17], 2, s[12:13]
	global_load_dword v19, v[20:21], off
	v_lshl_add_u64 v[20:21], v[16:17], 0, 1
	s_waitcnt vmcnt(0)
	v_cmp_lt_i32_e32 vcc, v19, v18
	s_nop 1
	v_cndmask_b32_e32 v13, v13, v21, vcc
	v_cndmask_b32_e32 v12, v12, v20, vcc
	v_cndmask_b32_e32 v15, v17, v15, vcc
	v_cndmask_b32_e32 v14, v16, v14, vcc
	s_or_b64 exec, exec, s[0:1]
	v_cmp_lt_i64_e32 vcc, v[12:13], v[14:15]
	s_and_saveexec_b64 s[0:1], vcc
	s_cbranch_execz .LBB28_61
.LBB28_65:
	v_mad_u64_u32 v[16:17], s[4:5], v14, 15, v[12:13]
	v_mov_b32_e32 v20, v17
	v_mad_u64_u32 v[20:21], s[4:5], v15, 15, v[20:21]
	v_mov_b32_e32 v17, v20
	v_lshrrev_b64 v[16:17], 4, v[16:17]
	v_lshl_add_u64 v[20:21], v[16:17], 2, s[12:13]
	global_load_dword v19, v[20:21], off
	v_lshl_add_u64 v[20:21], v[16:17], 0, 1
	s_waitcnt vmcnt(0)
	v_cmp_lt_i32_e32 vcc, v19, v18
	s_nop 1
	v_cndmask_b32_e32 v13, v13, v21, vcc
	v_cndmask_b32_e32 v12, v12, v20, vcc
	v_cndmask_b32_e32 v15, v17, v15, vcc
	v_cndmask_b32_e32 v14, v16, v14, vcc
	s_or_b64 exec, exec, s[0:1]
	v_cmp_lt_i64_e32 vcc, v[12:13], v[14:15]
	s_and_saveexec_b64 s[0:1], vcc
	s_cbranch_execz .LBB28_69
.LBB28_66:
	s_mov_b64 s[4:5], 0
.LBB28_67:                              ; =>This Inner Loop Header: Depth=1
	v_lshl_add_u64 v[16:17], v[12:13], 0, v[14:15]
	v_lshrrev_b64 v[16:17], 1, v[16:17]
	v_lshl_add_u64 v[20:21], v[16:17], 2, s[12:13]
	global_load_dword v19, v[20:21], off
	v_lshl_add_u64 v[20:21], v[16:17], 0, 1
	s_waitcnt vmcnt(0)
	v_cmp_lt_i32_e32 vcc, v19, v18
	s_nop 1
	v_cndmask_b32_e32 v13, v13, v21, vcc
	v_cndmask_b32_e32 v12, v12, v20, vcc
	;; [unrolled: 1-line block ×4, first 2 shown]
	v_cmp_ge_i64_e32 vcc, v[12:13], v[14:15]
	s_or_b64 s[4:5], vcc, s[4:5]
	s_andn2_b64 exec, exec, s[4:5]
	s_cbranch_execnz .LBB28_67
; %bb.68:
	s_or_b64 exec, exec, s[4:5]
.LBB28_69:
	s_or_b64 exec, exec, s[0:1]
	v_sub_co_u32_e32 v0, vcc, v0, v6
	v_mov_b32_e32 v19, s7
	s_nop 0
	v_subb_co_u32_e32 v1, vcc, v1, v7, vcc
	v_sub_co_u32_e32 v16, vcc, v10, v12
	s_nop 1
	v_subb_co_u32_e32 v17, vcc, v11, v13, vcc
	v_lshl_add_u64 v[14:15], v[16:17], 0, v[0:1]
	v_ashrrev_i64 v[0:1], 1, v[14:15]
	v_cmp_gt_i64_e32 vcc, v[0:1], v[16:17]
	s_nop 1
	v_cndmask_b32_e32 v1, v17, v1, vcc
	v_cndmask_b32_e32 v0, v16, v0, vcc
	v_lshl_add_u64 v[12:13], v[12:13], 0, v[0:1]
	v_lshl_add_u64 v[12:13], v[12:13], 0, 1
	v_cmp_gt_i64_e32 vcc, s[6:7], v[12:13]
	s_nop 1
	v_cndmask_b32_e32 v13, v19, v13, vcc
	v_mov_b32_e32 v19, s6
	v_cndmask_b32_e32 v12, v19, v12, vcc
	v_sub_co_u32_e32 v12, vcc, v12, v10
	s_nop 1
	v_subb_co_u32_e32 v13, vcc, v13, v11, vcc
	v_mov_b64_e32 v[10:11], 0
	v_cmp_lt_i64_e32 vcc, 0, v[12:13]
	s_and_saveexec_b64 s[0:1], vcc
	s_cbranch_execz .LBB28_73
; %bb.70:
	s_mov_b64 s[4:5], 0
	v_mov_b64_e32 v[10:11], 0
.LBB28_71:                              ; =>This Inner Loop Header: Depth=1
	v_lshl_add_u64 v[20:21], v[10:11], 0, v[12:13]
	v_lshrrev_b64 v[20:21], 1, v[20:21]
	v_lshl_add_u64 v[22:23], v[20:21], 2, v[8:9]
	global_load_dword v19, v[22:23], off
	v_lshl_add_u64 v[22:23], v[20:21], 0, 1
	s_waitcnt vmcnt(0)
	v_cmp_lt_i32_e32 vcc, v18, v19
	s_nop 1
	v_cndmask_b32_e32 v11, v23, v11, vcc
	v_cndmask_b32_e32 v10, v22, v10, vcc
	;; [unrolled: 1-line block ×4, first 2 shown]
	v_cmp_ge_i64_e32 vcc, v[10:11], v[12:13]
	s_or_b64 s[4:5], vcc, s[4:5]
	s_andn2_b64 exec, exec, s[4:5]
	s_cbranch_execnz .LBB28_71
; %bb.72:
	s_or_b64 exec, exec, s[4:5]
	v_ashrrev_i32_e32 v11, 31, v10
.LBB28_73:
	s_or_b64 exec, exec, s[0:1]
	v_lshl_add_u64 v[8:9], v[10:11], 0, v[16:17]
	v_cmp_lt_i64_e32 vcc, v[8:9], v[0:1]
	v_cmp_lt_i64_e64 s[0:1], v[0:1], v[8:9]
	s_nop 0
	v_cndmask_b32_e32 v10, v0, v8, vcc
	v_cndmask_b32_e32 v11, v1, v9, vcc
	v_sub_co_u32_e32 v12, vcc, v14, v10
	s_nop 1
	v_subb_co_u32_e32 v13, vcc, v15, v11, vcc
	v_lshl_add_u64 v[10:11], v[10:11], 0, 1
	v_cmp_eq_u64_e32 vcc, v[12:13], v[10:11]
	s_and_b64 s[0:1], vcc, s[0:1]
	v_cndmask_b32_e64 v8, 0, 1, s[0:1]
	s_mov_b32 s0, 0
	v_mov_b32_e32 v9, s0
	v_lshl_add_u64 v[0:1], v[12:13], 0, v[6:7]
.LBB28_74:
	s_or_b64 exec, exec, s[2:3]
	v_lshl_add_u64 v[6:7], v[2:3], 4, s[8:9]
	v_lshl_add_u64 v[2:3], v[8:9], 0, v[4:5]
	v_sub_co_u32_e32 v2, vcc, v2, v0
	s_nop 1
	v_subb_co_u32_e32 v3, vcc, v3, v1, vcc
	global_store_dwordx4 v[6:7], v[0:3], off
	s_endpgm
	.section	.rodata,"a",@progbits
	.p2align	6, 0x0
	.amdhsa_kernel _ZN6thrust23THRUST_200600_302600_NS11hip_rocprim14__parallel_for6kernelILj256EZNS1_16__set_operations9doit_stepILb0ENS0_6detail15normal_iteratorINS0_10device_ptrIKiEEEESB_PiSC_lNS0_16discard_iteratorINS0_11use_defaultEEESC_NS0_4lessIiEENS4_23serial_set_intersectionEEE10hipError_tPvRmT0_T1_T2_T3_T4_SQ_T5_T6_PSQ_T7_T8_P12ihipStream_tbEUllE_jLj1EEEvSM_SN_SN_
		.amdhsa_group_segment_fixed_size 0
		.amdhsa_private_segment_fixed_size 0
		.amdhsa_kernarg_size 56
		.amdhsa_user_sgpr_count 2
		.amdhsa_user_sgpr_dispatch_ptr 0
		.amdhsa_user_sgpr_queue_ptr 0
		.amdhsa_user_sgpr_kernarg_segment_ptr 1
		.amdhsa_user_sgpr_dispatch_id 0
		.amdhsa_user_sgpr_kernarg_preload_length 0
		.amdhsa_user_sgpr_kernarg_preload_offset 0
		.amdhsa_user_sgpr_private_segment_size 0
		.amdhsa_uses_dynamic_stack 0
		.amdhsa_enable_private_segment 0
		.amdhsa_system_sgpr_workgroup_id_x 1
		.amdhsa_system_sgpr_workgroup_id_y 0
		.amdhsa_system_sgpr_workgroup_id_z 0
		.amdhsa_system_sgpr_workgroup_info 0
		.amdhsa_system_vgpr_workitem_id 0
		.amdhsa_next_free_vgpr 25
		.amdhsa_next_free_sgpr 20
		.amdhsa_accum_offset 28
		.amdhsa_reserve_vcc 1
		.amdhsa_float_round_mode_32 0
		.amdhsa_float_round_mode_16_64 0
		.amdhsa_float_denorm_mode_32 3
		.amdhsa_float_denorm_mode_16_64 3
		.amdhsa_dx10_clamp 1
		.amdhsa_ieee_mode 1
		.amdhsa_fp16_overflow 0
		.amdhsa_tg_split 0
		.amdhsa_exception_fp_ieee_invalid_op 0
		.amdhsa_exception_fp_denorm_src 0
		.amdhsa_exception_fp_ieee_div_zero 0
		.amdhsa_exception_fp_ieee_overflow 0
		.amdhsa_exception_fp_ieee_underflow 0
		.amdhsa_exception_fp_ieee_inexact 0
		.amdhsa_exception_int_div_zero 0
	.end_amdhsa_kernel
	.section	.text._ZN6thrust23THRUST_200600_302600_NS11hip_rocprim14__parallel_for6kernelILj256EZNS1_16__set_operations9doit_stepILb0ENS0_6detail15normal_iteratorINS0_10device_ptrIKiEEEESB_PiSC_lNS0_16discard_iteratorINS0_11use_defaultEEESC_NS0_4lessIiEENS4_23serial_set_intersectionEEE10hipError_tPvRmT0_T1_T2_T3_T4_SQ_T5_T6_PSQ_T7_T8_P12ihipStream_tbEUllE_jLj1EEEvSM_SN_SN_,"axG",@progbits,_ZN6thrust23THRUST_200600_302600_NS11hip_rocprim14__parallel_for6kernelILj256EZNS1_16__set_operations9doit_stepILb0ENS0_6detail15normal_iteratorINS0_10device_ptrIKiEEEESB_PiSC_lNS0_16discard_iteratorINS0_11use_defaultEEESC_NS0_4lessIiEENS4_23serial_set_intersectionEEE10hipError_tPvRmT0_T1_T2_T3_T4_SQ_T5_T6_PSQ_T7_T8_P12ihipStream_tbEUllE_jLj1EEEvSM_SN_SN_,comdat
.Lfunc_end28:
	.size	_ZN6thrust23THRUST_200600_302600_NS11hip_rocprim14__parallel_for6kernelILj256EZNS1_16__set_operations9doit_stepILb0ENS0_6detail15normal_iteratorINS0_10device_ptrIKiEEEESB_PiSC_lNS0_16discard_iteratorINS0_11use_defaultEEESC_NS0_4lessIiEENS4_23serial_set_intersectionEEE10hipError_tPvRmT0_T1_T2_T3_T4_SQ_T5_T6_PSQ_T7_T8_P12ihipStream_tbEUllE_jLj1EEEvSM_SN_SN_, .Lfunc_end28-_ZN6thrust23THRUST_200600_302600_NS11hip_rocprim14__parallel_for6kernelILj256EZNS1_16__set_operations9doit_stepILb0ENS0_6detail15normal_iteratorINS0_10device_ptrIKiEEEESB_PiSC_lNS0_16discard_iteratorINS0_11use_defaultEEESC_NS0_4lessIiEENS4_23serial_set_intersectionEEE10hipError_tPvRmT0_T1_T2_T3_T4_SQ_T5_T6_PSQ_T7_T8_P12ihipStream_tbEUllE_jLj1EEEvSM_SN_SN_
                                        ; -- End function
	.set _ZN6thrust23THRUST_200600_302600_NS11hip_rocprim14__parallel_for6kernelILj256EZNS1_16__set_operations9doit_stepILb0ENS0_6detail15normal_iteratorINS0_10device_ptrIKiEEEESB_PiSC_lNS0_16discard_iteratorINS0_11use_defaultEEESC_NS0_4lessIiEENS4_23serial_set_intersectionEEE10hipError_tPvRmT0_T1_T2_T3_T4_SQ_T5_T6_PSQ_T7_T8_P12ihipStream_tbEUllE_jLj1EEEvSM_SN_SN_.num_vgpr, 25
	.set _ZN6thrust23THRUST_200600_302600_NS11hip_rocprim14__parallel_for6kernelILj256EZNS1_16__set_operations9doit_stepILb0ENS0_6detail15normal_iteratorINS0_10device_ptrIKiEEEESB_PiSC_lNS0_16discard_iteratorINS0_11use_defaultEEESC_NS0_4lessIiEENS4_23serial_set_intersectionEEE10hipError_tPvRmT0_T1_T2_T3_T4_SQ_T5_T6_PSQ_T7_T8_P12ihipStream_tbEUllE_jLj1EEEvSM_SN_SN_.num_agpr, 0
	.set _ZN6thrust23THRUST_200600_302600_NS11hip_rocprim14__parallel_for6kernelILj256EZNS1_16__set_operations9doit_stepILb0ENS0_6detail15normal_iteratorINS0_10device_ptrIKiEEEESB_PiSC_lNS0_16discard_iteratorINS0_11use_defaultEEESC_NS0_4lessIiEENS4_23serial_set_intersectionEEE10hipError_tPvRmT0_T1_T2_T3_T4_SQ_T5_T6_PSQ_T7_T8_P12ihipStream_tbEUllE_jLj1EEEvSM_SN_SN_.numbered_sgpr, 20
	.set _ZN6thrust23THRUST_200600_302600_NS11hip_rocprim14__parallel_for6kernelILj256EZNS1_16__set_operations9doit_stepILb0ENS0_6detail15normal_iteratorINS0_10device_ptrIKiEEEESB_PiSC_lNS0_16discard_iteratorINS0_11use_defaultEEESC_NS0_4lessIiEENS4_23serial_set_intersectionEEE10hipError_tPvRmT0_T1_T2_T3_T4_SQ_T5_T6_PSQ_T7_T8_P12ihipStream_tbEUllE_jLj1EEEvSM_SN_SN_.num_named_barrier, 0
	.set _ZN6thrust23THRUST_200600_302600_NS11hip_rocprim14__parallel_for6kernelILj256EZNS1_16__set_operations9doit_stepILb0ENS0_6detail15normal_iteratorINS0_10device_ptrIKiEEEESB_PiSC_lNS0_16discard_iteratorINS0_11use_defaultEEESC_NS0_4lessIiEENS4_23serial_set_intersectionEEE10hipError_tPvRmT0_T1_T2_T3_T4_SQ_T5_T6_PSQ_T7_T8_P12ihipStream_tbEUllE_jLj1EEEvSM_SN_SN_.private_seg_size, 0
	.set _ZN6thrust23THRUST_200600_302600_NS11hip_rocprim14__parallel_for6kernelILj256EZNS1_16__set_operations9doit_stepILb0ENS0_6detail15normal_iteratorINS0_10device_ptrIKiEEEESB_PiSC_lNS0_16discard_iteratorINS0_11use_defaultEEESC_NS0_4lessIiEENS4_23serial_set_intersectionEEE10hipError_tPvRmT0_T1_T2_T3_T4_SQ_T5_T6_PSQ_T7_T8_P12ihipStream_tbEUllE_jLj1EEEvSM_SN_SN_.uses_vcc, 1
	.set _ZN6thrust23THRUST_200600_302600_NS11hip_rocprim14__parallel_for6kernelILj256EZNS1_16__set_operations9doit_stepILb0ENS0_6detail15normal_iteratorINS0_10device_ptrIKiEEEESB_PiSC_lNS0_16discard_iteratorINS0_11use_defaultEEESC_NS0_4lessIiEENS4_23serial_set_intersectionEEE10hipError_tPvRmT0_T1_T2_T3_T4_SQ_T5_T6_PSQ_T7_T8_P12ihipStream_tbEUllE_jLj1EEEvSM_SN_SN_.uses_flat_scratch, 0
	.set _ZN6thrust23THRUST_200600_302600_NS11hip_rocprim14__parallel_for6kernelILj256EZNS1_16__set_operations9doit_stepILb0ENS0_6detail15normal_iteratorINS0_10device_ptrIKiEEEESB_PiSC_lNS0_16discard_iteratorINS0_11use_defaultEEESC_NS0_4lessIiEENS4_23serial_set_intersectionEEE10hipError_tPvRmT0_T1_T2_T3_T4_SQ_T5_T6_PSQ_T7_T8_P12ihipStream_tbEUllE_jLj1EEEvSM_SN_SN_.has_dyn_sized_stack, 0
	.set _ZN6thrust23THRUST_200600_302600_NS11hip_rocprim14__parallel_for6kernelILj256EZNS1_16__set_operations9doit_stepILb0ENS0_6detail15normal_iteratorINS0_10device_ptrIKiEEEESB_PiSC_lNS0_16discard_iteratorINS0_11use_defaultEEESC_NS0_4lessIiEENS4_23serial_set_intersectionEEE10hipError_tPvRmT0_T1_T2_T3_T4_SQ_T5_T6_PSQ_T7_T8_P12ihipStream_tbEUllE_jLj1EEEvSM_SN_SN_.has_recursion, 0
	.set _ZN6thrust23THRUST_200600_302600_NS11hip_rocprim14__parallel_for6kernelILj256EZNS1_16__set_operations9doit_stepILb0ENS0_6detail15normal_iteratorINS0_10device_ptrIKiEEEESB_PiSC_lNS0_16discard_iteratorINS0_11use_defaultEEESC_NS0_4lessIiEENS4_23serial_set_intersectionEEE10hipError_tPvRmT0_T1_T2_T3_T4_SQ_T5_T6_PSQ_T7_T8_P12ihipStream_tbEUllE_jLj1EEEvSM_SN_SN_.has_indirect_call, 0
	.section	.AMDGPU.csdata,"",@progbits
; Kernel info:
; codeLenInByte = 3768
; TotalNumSgprs: 26
; NumVgprs: 25
; NumAgprs: 0
; TotalNumVgprs: 25
; ScratchSize: 0
; MemoryBound: 0
; FloatMode: 240
; IeeeMode: 1
; LDSByteSize: 0 bytes/workgroup (compile time only)
; SGPRBlocks: 3
; VGPRBlocks: 3
; NumSGPRsForWavesPerEU: 26
; NumVGPRsForWavesPerEU: 25
; AccumOffset: 28
; Occupancy: 8
; WaveLimiterHint : 0
; COMPUTE_PGM_RSRC2:SCRATCH_EN: 0
; COMPUTE_PGM_RSRC2:USER_SGPR: 2
; COMPUTE_PGM_RSRC2:TRAP_HANDLER: 0
; COMPUTE_PGM_RSRC2:TGID_X_EN: 1
; COMPUTE_PGM_RSRC2:TGID_Y_EN: 0
; COMPUTE_PGM_RSRC2:TGID_Z_EN: 0
; COMPUTE_PGM_RSRC2:TIDIG_COMP_CNT: 0
; COMPUTE_PGM_RSRC3_GFX90A:ACCUM_OFFSET: 6
; COMPUTE_PGM_RSRC3_GFX90A:TG_SPLIT: 0
	.section	.text._ZN6thrust23THRUST_200600_302600_NS11hip_rocprim16__set_operations22lookback_set_op_kernelIN7rocprim17ROCPRIM_400000_NS13kernel_configILj256ELj16ELj4294967295EEELb0ENS0_6detail15normal_iteratorINS0_10device_ptrIKiEEEESD_PiSE_lNS0_16discard_iteratorINS0_11use_defaultEEESE_NS0_4lessIiEENS2_23serial_set_intersectionENS5_6detail19lookback_scan_stateIlLb0ELb1EEEEEvT1_T2_T3_T4_T6_T7_T8_T9_PNS0_4pairIT5_SX_EEPSX_T10_NSL_16ordered_block_idIjEE,"axG",@progbits,_ZN6thrust23THRUST_200600_302600_NS11hip_rocprim16__set_operations22lookback_set_op_kernelIN7rocprim17ROCPRIM_400000_NS13kernel_configILj256ELj16ELj4294967295EEELb0ENS0_6detail15normal_iteratorINS0_10device_ptrIKiEEEESD_PiSE_lNS0_16discard_iteratorINS0_11use_defaultEEESE_NS0_4lessIiEENS2_23serial_set_intersectionENS5_6detail19lookback_scan_stateIlLb0ELb1EEEEEvT1_T2_T3_T4_T6_T7_T8_T9_PNS0_4pairIT5_SX_EEPSX_T10_NSL_16ordered_block_idIjEE,comdat
	.protected	_ZN6thrust23THRUST_200600_302600_NS11hip_rocprim16__set_operations22lookback_set_op_kernelIN7rocprim17ROCPRIM_400000_NS13kernel_configILj256ELj16ELj4294967295EEELb0ENS0_6detail15normal_iteratorINS0_10device_ptrIKiEEEESD_PiSE_lNS0_16discard_iteratorINS0_11use_defaultEEESE_NS0_4lessIiEENS2_23serial_set_intersectionENS5_6detail19lookback_scan_stateIlLb0ELb1EEEEEvT1_T2_T3_T4_T6_T7_T8_T9_PNS0_4pairIT5_SX_EEPSX_T10_NSL_16ordered_block_idIjEE ; -- Begin function _ZN6thrust23THRUST_200600_302600_NS11hip_rocprim16__set_operations22lookback_set_op_kernelIN7rocprim17ROCPRIM_400000_NS13kernel_configILj256ELj16ELj4294967295EEELb0ENS0_6detail15normal_iteratorINS0_10device_ptrIKiEEEESD_PiSE_lNS0_16discard_iteratorINS0_11use_defaultEEESE_NS0_4lessIiEENS2_23serial_set_intersectionENS5_6detail19lookback_scan_stateIlLb0ELb1EEEEEvT1_T2_T3_T4_T6_T7_T8_T9_PNS0_4pairIT5_SX_EEPSX_T10_NSL_16ordered_block_idIjEE
	.globl	_ZN6thrust23THRUST_200600_302600_NS11hip_rocprim16__set_operations22lookback_set_op_kernelIN7rocprim17ROCPRIM_400000_NS13kernel_configILj256ELj16ELj4294967295EEELb0ENS0_6detail15normal_iteratorINS0_10device_ptrIKiEEEESD_PiSE_lNS0_16discard_iteratorINS0_11use_defaultEEESE_NS0_4lessIiEENS2_23serial_set_intersectionENS5_6detail19lookback_scan_stateIlLb0ELb1EEEEEvT1_T2_T3_T4_T6_T7_T8_T9_PNS0_4pairIT5_SX_EEPSX_T10_NSL_16ordered_block_idIjEE
	.p2align	8
	.type	_ZN6thrust23THRUST_200600_302600_NS11hip_rocprim16__set_operations22lookback_set_op_kernelIN7rocprim17ROCPRIM_400000_NS13kernel_configILj256ELj16ELj4294967295EEELb0ENS0_6detail15normal_iteratorINS0_10device_ptrIKiEEEESD_PiSE_lNS0_16discard_iteratorINS0_11use_defaultEEESE_NS0_4lessIiEENS2_23serial_set_intersectionENS5_6detail19lookback_scan_stateIlLb0ELb1EEEEEvT1_T2_T3_T4_T6_T7_T8_T9_PNS0_4pairIT5_SX_EEPSX_T10_NSL_16ordered_block_idIjEE,@function
_ZN6thrust23THRUST_200600_302600_NS11hip_rocprim16__set_operations22lookback_set_op_kernelIN7rocprim17ROCPRIM_400000_NS13kernel_configILj256ELj16ELj4294967295EEELb0ENS0_6detail15normal_iteratorINS0_10device_ptrIKiEEEESD_PiSE_lNS0_16discard_iteratorINS0_11use_defaultEEESE_NS0_4lessIiEENS2_23serial_set_intersectionENS5_6detail19lookback_scan_stateIlLb0ELb1EEEEEvT1_T2_T3_T4_T6_T7_T8_T9_PNS0_4pairIT5_SX_EEPSX_T10_NSL_16ordered_block_idIjEE: ; @_ZN6thrust23THRUST_200600_302600_NS11hip_rocprim16__set_operations22lookback_set_op_kernelIN7rocprim17ROCPRIM_400000_NS13kernel_configILj256ELj16ELj4294967295EEELb0ENS0_6detail15normal_iteratorINS0_10device_ptrIKiEEEESD_PiSE_lNS0_16discard_iteratorINS0_11use_defaultEEESE_NS0_4lessIiEENS2_23serial_set_intersectionENS5_6detail19lookback_scan_stateIlLb0ELb1EEEEEvT1_T2_T3_T4_T6_T7_T8_T9_PNS0_4pairIT5_SX_EEPSX_T10_NSL_16ordered_block_idIjEE
; %bb.0:
	s_load_dword s2, s[0:1], 0x6c
	s_load_dword s16, s[0:1], 0x60
	s_load_dwordx8 s[8:15], s[0:1], 0x40
	v_bfe_u32 v1, v0, 10, 10
	v_bfe_u32 v2, v0, 20, 10
	s_waitcnt lgkmcnt(0)
	s_lshr_b32 s3, s2, 16
	s_and_b32 s2, s2, 0xffff
	v_mad_u32_u24 v1, v2, s3, v1
	v_and_b32_e32 v24, 0x3ff, v0
	v_mul_lo_u32 v1, v1, s2
	v_sub_u32_e32 v0, 0, v24
	v_cmp_eq_u32_e32 vcc, v1, v0
	s_and_saveexec_b64 s[2:3], vcc
	s_cbranch_execz .LBB29_4
; %bb.1:
	s_mov_b64 s[6:7], exec
	v_mbcnt_lo_u32_b32 v0, s6, 0
	v_mbcnt_hi_u32_b32 v0, s7, v0
	v_cmp_eq_u32_e32 vcc, 0, v0
                                        ; implicit-def: $vgpr1
	s_and_saveexec_b64 s[4:5], vcc
	s_cbranch_execz .LBB29_3
; %bb.2:
	s_bcnt1_i32_b64 s6, s[6:7]
	v_mov_b32_e32 v1, 0
	v_mov_b32_e32 v2, s6
	global_atomic_add v1, v1, v2, s[14:15] sc0
.LBB29_3:
	s_or_b64 exec, exec, s[4:5]
	s_waitcnt vmcnt(0)
	v_readfirstlane_b32 s4, v1
	v_mov_b32_e32 v1, 0
	s_nop 0
	v_add_u32_e32 v0, s4, v0
	ds_write_b32 v1, v0 offset:36864
.LBB29_4:
	s_or_b64 exec, exec, s[2:3]
	v_mov_b32_e32 v0, 0
	s_waitcnt lgkmcnt(0)
	s_barrier
	ds_read_b32 v1, v0 offset:36864
	s_add_i32 s16, s16, -1
	s_waitcnt lgkmcnt(0)
	v_readfirstlane_b32 s14, v1
	s_ashr_i32 s15, s14, 31
	s_lshl_b64 s[2:3], s[14:15], 4
	s_add_u32 s2, s8, s2
	s_addc_u32 s3, s9, s3
	global_load_dwordx4 v[2:5], v0, s[2:3] offset:16
	global_load_dwordx4 v[6:9], v0, s[2:3]
	s_load_dwordx4 s[0:3], s[0:1], 0x0
	v_cmp_le_i32_e32 vcc, s16, v1
	s_and_b64 vcc, exec, vcc
	s_waitcnt vmcnt(0)
	v_sub_u32_e32 v25, v2, v6
	v_sub_u32_e32 v26, v4, v8
	v_lshlrev_b64 v[2:3], 2, v[6:7]
	v_lshlrev_b64 v[4:5], 2, v[8:9]
	s_waitcnt lgkmcnt(0)
	v_lshl_add_u64 v[18:19], s[0:1], 0, v[2:3]
	v_lshl_add_u64 v[16:17], s[2:3], 0, v[4:5]
	s_mov_b64 s[0:1], -1
	s_cbranch_vccnz .LBB29_7
; %bb.5:
	s_and_b64 vcc, exec, s[0:1]
	s_cbranch_vccnz .LBB29_206
.LBB29_6:
	s_endpgm
.LBB29_7:
	v_add_u32_e32 v20, v26, v25
	v_cmp_lt_i32_e32 vcc, v24, v20
	v_mov_b32_e32 v1, v0
	v_mov_b32_e32 v2, v0
	v_mov_b32_e32 v3, v0
	v_mov_b32_e32 v4, v0
	v_mov_b32_e32 v5, v0
	v_mov_b32_e32 v6, v0
	v_mov_b32_e32 v7, v0
	v_mov_b32_e32 v8, v0
	v_mov_b32_e32 v9, v0
	v_mov_b32_e32 v10, v0
	v_mov_b32_e32 v11, v0
	v_mov_b32_e32 v12, v0
	v_mov_b32_e32 v13, v0
	v_mov_b32_e32 v14, v0
	v_mov_b32_e32 v15, v0
	s_and_saveexec_b64 s[0:1], vcc
	s_cbranch_execz .LBB29_9
; %bb.8:
	v_lshlrev_b32_e32 v0, 2, v24
	v_mov_b32_e32 v1, 0
	v_lshl_add_u64 v[2:3], v[18:19], 0, v[0:1]
	v_sub_u32_e32 v0, v24, v25
	v_lshl_add_u64 v[4:5], v[0:1], 2, v[16:17]
	v_cmp_lt_i32_e32 vcc, v24, v25
	v_mov_b32_e32 v6, v1
	v_mov_b32_e32 v7, v1
	v_cndmask_b32_e32 v3, v5, v3, vcc
	v_cndmask_b32_e32 v2, v4, v2, vcc
	global_load_dword v0, v[2:3], off
	v_mov_b32_e32 v2, v1
	v_mov_b32_e32 v3, v1
	;; [unrolled: 1-line block ×12, first 2 shown]
.LBB29_9:
	s_or_b64 exec, exec, s[0:1]
	v_add_u32_e32 v21, 0x100, v24
	v_cmp_lt_i32_e32 vcc, v21, v20
	s_and_saveexec_b64 s[0:1], vcc
	s_cbranch_execz .LBB29_11
; %bb.10:
	v_lshlrev_b32_e32 v22, 2, v24
	v_mov_b32_e32 v23, 0
	v_lshl_add_u64 v[28:29], v[18:19], 0, v[22:23]
	s_mov_b64 s[2:3], 0x400
	v_sub_u32_e32 v22, v21, v25
	v_lshl_add_u64 v[28:29], v[28:29], 0, s[2:3]
	v_lshl_add_u64 v[22:23], v[22:23], 2, v[16:17]
	v_cmp_lt_i32_e32 vcc, v21, v25
	s_nop 1
	v_cndmask_b32_e32 v23, v23, v29, vcc
	v_cndmask_b32_e32 v22, v22, v28, vcc
	global_load_dword v1, v[22:23], off
.LBB29_11:
	s_or_b64 exec, exec, s[0:1]
	v_add_u32_e32 v21, 0x200, v24
	v_cmp_lt_i32_e32 vcc, v21, v20
	s_and_saveexec_b64 s[0:1], vcc
	s_cbranch_execz .LBB29_13
; %bb.12:
	v_lshlrev_b32_e32 v22, 2, v24
	v_mov_b32_e32 v23, 0
	v_lshl_add_u64 v[28:29], v[18:19], 0, v[22:23]
	s_mov_b64 s[2:3], 0x800
	v_sub_u32_e32 v22, v21, v25
	v_lshl_add_u64 v[28:29], v[28:29], 0, s[2:3]
	v_lshl_add_u64 v[22:23], v[22:23], 2, v[16:17]
	v_cmp_lt_i32_e32 vcc, v21, v25
	s_nop 1
	v_cndmask_b32_e32 v23, v23, v29, vcc
	v_cndmask_b32_e32 v22, v22, v28, vcc
	global_load_dword v2, v[22:23], off
.LBB29_13:
	;; [unrolled: 19-line block ×3, first 2 shown]
	s_or_b64 exec, exec, s[0:1]
	v_or_b32_e32 v21, 0x400, v24
	v_cmp_lt_i32_e32 vcc, v21, v20
	s_and_saveexec_b64 s[0:1], vcc
	s_cbranch_execz .LBB29_17
; %bb.16:
	v_lshlrev_b32_e32 v22, 2, v21
	v_mov_b32_e32 v23, 0
	v_lshl_add_u64 v[28:29], v[18:19], 0, v[22:23]
	v_sub_u32_e32 v22, v21, v25
	v_lshl_add_u64 v[22:23], v[22:23], 2, v[16:17]
	v_cmp_lt_i32_e32 vcc, v21, v25
	s_nop 1
	v_cndmask_b32_e32 v23, v23, v29, vcc
	v_cndmask_b32_e32 v22, v22, v28, vcc
	global_load_dword v4, v[22:23], off
.LBB29_17:
	s_or_b64 exec, exec, s[0:1]
	v_add_u32_e32 v21, 0x500, v24
	v_cmp_lt_i32_e32 vcc, v21, v20
	s_and_saveexec_b64 s[0:1], vcc
	s_cbranch_execz .LBB29_19
; %bb.18:
	v_lshlrev_b32_e32 v22, 2, v21
	v_mov_b32_e32 v23, 0
	v_lshl_add_u64 v[28:29], v[18:19], 0, v[22:23]
	v_sub_u32_e32 v22, v21, v25
	v_lshl_add_u64 v[22:23], v[22:23], 2, v[16:17]
	v_cmp_lt_i32_e32 vcc, v21, v25
	s_nop 1
	v_cndmask_b32_e32 v23, v23, v29, vcc
	v_cndmask_b32_e32 v22, v22, v28, vcc
	global_load_dword v5, v[22:23], off
.LBB29_19:
	s_or_b64 exec, exec, s[0:1]
	v_add_u32_e32 v21, 0x600, v24
	;; [unrolled: 17-line block ×3, first 2 shown]
	v_cmp_lt_i32_e32 vcc, v21, v20
	s_and_saveexec_b64 s[0:1], vcc
	s_cbranch_execz .LBB29_23
; %bb.22:
	v_lshlrev_b32_e32 v22, 2, v21
	v_mov_b32_e32 v23, 0
	v_lshl_add_u64 v[28:29], v[18:19], 0, v[22:23]
	v_sub_u32_e32 v22, v21, v25
	v_lshl_add_u64 v[22:23], v[22:23], 2, v[16:17]
	v_cmp_lt_i32_e32 vcc, v21, v25
	s_nop 1
	v_cndmask_b32_e32 v23, v23, v29, vcc
	v_cndmask_b32_e32 v22, v22, v28, vcc
	global_load_dword v7, v[22:23], off
.LBB29_23:
	s_or_b64 exec, exec, s[0:1]
	v_or_b32_e32 v21, 0x800, v24
	v_cmp_lt_i32_e32 vcc, v21, v20
	s_and_saveexec_b64 s[0:1], vcc
	s_cbranch_execz .LBB29_25
; %bb.24:
	v_lshlrev_b32_e32 v22, 2, v21
	v_mov_b32_e32 v23, 0
	v_lshl_add_u64 v[28:29], v[18:19], 0, v[22:23]
	v_sub_u32_e32 v22, v21, v25
	v_lshl_add_u64 v[22:23], v[22:23], 2, v[16:17]
	v_cmp_lt_i32_e32 vcc, v21, v25
	s_nop 1
	v_cndmask_b32_e32 v23, v23, v29, vcc
	v_cndmask_b32_e32 v22, v22, v28, vcc
	global_load_dword v8, v[22:23], off
.LBB29_25:
	s_or_b64 exec, exec, s[0:1]
	v_add_u32_e32 v21, 0x900, v24
	v_cmp_lt_i32_e32 vcc, v21, v20
	s_and_saveexec_b64 s[0:1], vcc
	s_cbranch_execz .LBB29_27
; %bb.26:
	v_lshlrev_b32_e32 v22, 2, v21
	v_mov_b32_e32 v23, 0
	v_lshl_add_u64 v[28:29], v[18:19], 0, v[22:23]
	v_sub_u32_e32 v22, v21, v25
	v_lshl_add_u64 v[22:23], v[22:23], 2, v[16:17]
	v_cmp_lt_i32_e32 vcc, v21, v25
	s_nop 1
	v_cndmask_b32_e32 v23, v23, v29, vcc
	v_cndmask_b32_e32 v22, v22, v28, vcc
	global_load_dword v9, v[22:23], off
.LBB29_27:
	s_or_b64 exec, exec, s[0:1]
	v_add_u32_e32 v21, 0xa00, v24
	;; [unrolled: 17-line block ×3, first 2 shown]
	v_cmp_lt_i32_e32 vcc, v21, v20
	s_and_saveexec_b64 s[0:1], vcc
	s_cbranch_execz .LBB29_31
; %bb.30:
	v_lshlrev_b32_e32 v22, 2, v21
	v_mov_b32_e32 v23, 0
	v_lshl_add_u64 v[28:29], v[18:19], 0, v[22:23]
	v_sub_u32_e32 v22, v21, v25
	v_lshl_add_u64 v[22:23], v[22:23], 2, v[16:17]
	v_cmp_lt_i32_e32 vcc, v21, v25
	s_nop 1
	v_cndmask_b32_e32 v23, v23, v29, vcc
	v_cndmask_b32_e32 v22, v22, v28, vcc
	global_load_dword v11, v[22:23], off
.LBB29_31:
	s_or_b64 exec, exec, s[0:1]
	v_or_b32_e32 v21, 0xc00, v24
	v_cmp_lt_i32_e32 vcc, v21, v20
	s_and_saveexec_b64 s[0:1], vcc
	s_cbranch_execz .LBB29_33
; %bb.32:
	v_lshlrev_b32_e32 v22, 2, v21
	v_mov_b32_e32 v23, 0
	v_lshl_add_u64 v[28:29], v[18:19], 0, v[22:23]
	v_sub_u32_e32 v22, v21, v25
	v_lshl_add_u64 v[22:23], v[22:23], 2, v[16:17]
	v_cmp_lt_i32_e32 vcc, v21, v25
	s_nop 1
	v_cndmask_b32_e32 v23, v23, v29, vcc
	v_cndmask_b32_e32 v22, v22, v28, vcc
	global_load_dword v12, v[22:23], off
.LBB29_33:
	s_or_b64 exec, exec, s[0:1]
	v_add_u32_e32 v21, 0xd00, v24
	v_cmp_lt_i32_e32 vcc, v21, v20
	s_and_saveexec_b64 s[0:1], vcc
	s_cbranch_execz .LBB29_35
; %bb.34:
	v_lshlrev_b32_e32 v22, 2, v21
	v_mov_b32_e32 v23, 0
	v_lshl_add_u64 v[28:29], v[18:19], 0, v[22:23]
	v_sub_u32_e32 v22, v21, v25
	v_lshl_add_u64 v[22:23], v[22:23], 2, v[16:17]
	v_cmp_lt_i32_e32 vcc, v21, v25
	s_nop 1
	v_cndmask_b32_e32 v23, v23, v29, vcc
	v_cndmask_b32_e32 v22, v22, v28, vcc
	global_load_dword v13, v[22:23], off
.LBB29_35:
	s_or_b64 exec, exec, s[0:1]
	v_add_u32_e32 v21, 0xe00, v24
	;; [unrolled: 17-line block ×3, first 2 shown]
	v_cmp_lt_i32_e32 vcc, v21, v20
	s_and_saveexec_b64 s[0:1], vcc
	s_cbranch_execz .LBB29_39
; %bb.38:
	v_lshlrev_b32_e32 v22, 2, v21
	v_mov_b32_e32 v23, 0
	v_lshl_add_u64 v[28:29], v[18:19], 0, v[22:23]
	v_sub_u32_e32 v22, v21, v25
	v_lshl_add_u64 v[22:23], v[22:23], 2, v[16:17]
	v_cmp_lt_i32_e32 vcc, v21, v25
	s_nop 1
	v_cndmask_b32_e32 v23, v23, v29, vcc
	v_cndmask_b32_e32 v22, v22, v28, vcc
	global_load_dword v15, v[22:23], off
.LBB29_39:
	s_or_b64 exec, exec, s[0:1]
	v_lshlrev_b32_e32 v21, 2, v24
	s_waitcnt vmcnt(0)
	ds_write2st64_b32 v21, v2, v3 offset0:84 offset1:88
	ds_write2st64_b32 v21, v4, v5 offset0:92 offset1:96
	;; [unrolled: 1-line block ×8, first 2 shown]
	v_lshlrev_b32_e32 v0, 4, v24
	v_min_i32_e32 v1, v20, v0
	v_lshlrev_b32_e32 v0, 2, v25
	v_add_u32_e32 v2, 0x4800, v0
	v_sub_u32_e32 v0, v1, v26
	v_max_i32_e32 v0, 0, v0
	v_min_i32_e32 v3, v25, v1
	v_cmp_lt_i32_e32 vcc, v0, v3
	s_waitcnt lgkmcnt(0)
	s_barrier
	s_and_saveexec_b64 s[0:1], vcc
	s_cbranch_execz .LBB29_43
; %bb.40:
	v_lshl_add_u32 v4, v1, 2, v2
	v_add_u32_e32 v4, 0x400, v4
	s_mov_b64 s[2:3], 0
.LBB29_41:                              ; =>This Inner Loop Header: Depth=1
	v_add_u32_e32 v5, v3, v0
	v_lshrrev_b32_e32 v5, 1, v5
	v_not_b32_e32 v7, v5
	v_lshlrev_b32_e32 v6, 2, v5
	v_lshl_add_u32 v7, v7, 2, v4
	ds_read_b32 v6, v6 offset:19456
	ds_read_b32 v7, v7
	v_add_u32_e32 v8, 1, v5
	s_waitcnt lgkmcnt(0)
	v_cmp_lt_i32_e32 vcc, v7, v6
	s_nop 1
	v_cndmask_b32_e32 v3, v3, v5, vcc
	v_cndmask_b32_e32 v0, v8, v0, vcc
	v_cmp_ge_i32_e32 vcc, v0, v3
	s_or_b64 s[2:3], vcc, s[2:3]
	s_andn2_b64 exec, exec, s[2:3]
	s_cbranch_execnz .LBB29_41
; %bb.42:
	s_or_b64 exec, exec, s[2:3]
.LBB29_43:
	s_or_b64 exec, exec, s[0:1]
	v_sub_u32_e32 v6, v1, v0
	v_add_u32_e32 v27, 0x4800, v21
	v_cmp_lt_i32_e32 vcc, v6, v26
	v_mov_b32_e32 v4, 0
	s_and_saveexec_b64 s[2:3], vcc
	s_cbranch_execz .LBB29_73
; %bb.44:
	v_lshl_add_u32 v4, v6, 2, v2
	ds_read_b32 v5, v4 offset:1024
	v_mov_b32_e32 v3, 0
	v_cmp_lt_i32_e32 vcc, 0, v0
	v_mov_b32_e32 v7, 0
	s_and_saveexec_b64 s[0:1], vcc
	s_cbranch_execnz .LBB29_49
; %bb.45:
	s_or_b64 exec, exec, s[0:1]
	v_cmp_lt_i32_e32 vcc, v3, v7
	s_and_saveexec_b64 s[0:1], vcc
	s_cbranch_execnz .LBB29_50
.LBB29_46:
	s_or_b64 exec, exec, s[0:1]
	v_cmp_lt_i32_e32 vcc, v3, v7
	s_and_saveexec_b64 s[0:1], vcc
	s_cbranch_execnz .LBB29_51
.LBB29_47:
	s_or_b64 exec, exec, s[0:1]
	v_cmp_lt_i32_e32 vcc, v3, v7
	s_and_saveexec_b64 s[0:1], vcc
	s_cbranch_execnz .LBB29_52
.LBB29_48:
	s_or_b64 exec, exec, s[0:1]
	v_cmp_lt_i32_e32 vcc, v3, v7
	s_and_saveexec_b64 s[0:1], vcc
	s_cbranch_execnz .LBB29_53
	s_branch .LBB29_56
.LBB29_49:
	s_movk_i32 s4, 0x1ff
	v_mul_lo_u32 v3, v0, s4
	v_ashrrev_i32_e32 v7, 9, v3
	v_lshlrev_b32_e32 v3, 2, v7
	ds_read_b32 v3, v3 offset:19456
	v_add_u32_e32 v8, 1, v7
	s_waitcnt lgkmcnt(0)
	v_cmp_lt_i32_e32 vcc, v3, v5
	s_nop 1
	v_cndmask_b32_e32 v3, 0, v8, vcc
	v_cndmask_b32_e32 v7, v7, v0, vcc
	s_or_b64 exec, exec, s[0:1]
	v_cmp_lt_i32_e32 vcc, v3, v7
	s_and_saveexec_b64 s[0:1], vcc
	s_cbranch_execz .LBB29_46
.LBB29_50:
	v_sub_u32_e32 v8, v3, v7
	v_lshl_add_u32 v8, v7, 7, v8
	v_ashrrev_i32_e32 v8, 7, v8
	v_lshlrev_b32_e32 v9, 2, v8
	ds_read_b32 v9, v9 offset:19456
	v_add_u32_e32 v10, 1, v8
	s_waitcnt lgkmcnt(0)
	v_cmp_lt_i32_e32 vcc, v9, v5
	s_nop 1
	v_cndmask_b32_e32 v3, v3, v10, vcc
	v_cndmask_b32_e32 v7, v8, v7, vcc
	s_or_b64 exec, exec, s[0:1]
	v_cmp_lt_i32_e32 vcc, v3, v7
	s_and_saveexec_b64 s[0:1], vcc
	s_cbranch_execz .LBB29_47
.LBB29_51:
	v_sub_u32_e32 v8, v3, v7
	v_lshl_add_u32 v8, v7, 5, v8
	v_ashrrev_i32_e32 v8, 5, v8
	v_lshlrev_b32_e32 v9, 2, v8
	ds_read_b32 v9, v9 offset:19456
	v_add_u32_e32 v10, 1, v8
	s_waitcnt lgkmcnt(0)
	v_cmp_lt_i32_e32 vcc, v9, v5
	s_nop 1
	v_cndmask_b32_e32 v3, v3, v10, vcc
	v_cndmask_b32_e32 v7, v8, v7, vcc
	s_or_b64 exec, exec, s[0:1]
	v_cmp_lt_i32_e32 vcc, v3, v7
	s_and_saveexec_b64 s[0:1], vcc
	s_cbranch_execz .LBB29_48
.LBB29_52:
	v_sub_u32_e32 v8, v3, v7
	v_lshl_add_u32 v8, v7, 4, v8
	v_ashrrev_i32_e32 v8, 4, v8
	v_lshlrev_b32_e32 v9, 2, v8
	ds_read_b32 v9, v9 offset:19456
	v_add_u32_e32 v10, 1, v8
	s_waitcnt lgkmcnt(0)
	v_cmp_lt_i32_e32 vcc, v9, v5
	s_nop 1
	v_cndmask_b32_e32 v3, v3, v10, vcc
	v_cndmask_b32_e32 v7, v8, v7, vcc
	s_or_b64 exec, exec, s[0:1]
	v_cmp_lt_i32_e32 vcc, v3, v7
	s_and_saveexec_b64 s[0:1], vcc
	s_cbranch_execz .LBB29_56
.LBB29_53:
	s_mov_b64 s[4:5], 0
.LBB29_54:                              ; =>This Inner Loop Header: Depth=1
	v_sub_u32_e32 v8, v3, v7
	v_lshl_add_u32 v8, v7, 1, v8
	v_ashrrev_i32_e32 v8, 1, v8
	v_lshlrev_b32_e32 v9, 2, v8
	ds_read_b32 v9, v9 offset:19456
	v_add_u32_e32 v10, 1, v8
	s_waitcnt lgkmcnt(0)
	v_cmp_lt_i32_e32 vcc, v9, v5
	s_nop 1
	v_cndmask_b32_e32 v3, v3, v10, vcc
	v_cndmask_b32_e32 v7, v8, v7, vcc
	v_cmp_ge_i32_e32 vcc, v3, v7
	s_or_b64 s[4:5], vcc, s[4:5]
	s_andn2_b64 exec, exec, s[4:5]
	s_cbranch_execnz .LBB29_54
; %bb.55:
	s_or_b64 exec, exec, s[4:5]
.LBB29_56:
	s_or_b64 exec, exec, s[0:1]
	v_mov_b32_e32 v7, 0
	v_cmp_lt_i32_e32 vcc, 0, v6
	v_mov_b32_e32 v8, v6
	s_and_saveexec_b64 s[0:1], vcc
	s_cbranch_execnz .LBB29_61
; %bb.57:
	s_or_b64 exec, exec, s[0:1]
	v_cmp_lt_i32_e32 vcc, v7, v8
	s_and_saveexec_b64 s[0:1], vcc
	s_cbranch_execnz .LBB29_62
.LBB29_58:
	s_or_b64 exec, exec, s[0:1]
	v_cmp_lt_i32_e32 vcc, v7, v8
	s_and_saveexec_b64 s[0:1], vcc
	s_cbranch_execnz .LBB29_63
.LBB29_59:
	s_or_b64 exec, exec, s[0:1]
	v_cmp_lt_i32_e32 vcc, v7, v8
	s_and_saveexec_b64 s[0:1], vcc
	s_cbranch_execnz .LBB29_64
.LBB29_60:
	s_or_b64 exec, exec, s[0:1]
	v_cmp_lt_i32_e32 vcc, v7, v8
	s_and_saveexec_b64 s[0:1], vcc
	s_cbranch_execnz .LBB29_65
	s_branch .LBB29_68
.LBB29_61:
	s_movk_i32 s4, 0x1ff
	v_mul_lo_u32 v7, v6, s4
	v_lshrrev_b32_e32 v8, 9, v7
	v_lshl_add_u32 v7, v8, 2, v2
	ds_read_b32 v7, v7 offset:1024
	v_add_u32_e32 v9, 1, v8
	s_waitcnt lgkmcnt(0)
	v_cmp_lt_i32_e32 vcc, v7, v5
	s_nop 1
	v_cndmask_b32_e32 v7, 0, v9, vcc
	v_cndmask_b32_e32 v8, v8, v6, vcc
	s_or_b64 exec, exec, s[0:1]
	v_cmp_lt_i32_e32 vcc, v7, v8
	s_and_saveexec_b64 s[0:1], vcc
	s_cbranch_execz .LBB29_58
.LBB29_62:
	v_sub_u32_e32 v9, v7, v8
	v_lshl_add_u32 v9, v8, 7, v9
	v_ashrrev_i32_e32 v9, 7, v9
	v_lshl_add_u32 v10, v9, 2, v2
	ds_read_b32 v10, v10 offset:1024
	v_add_u32_e32 v11, 1, v9
	s_waitcnt lgkmcnt(0)
	v_cmp_lt_i32_e32 vcc, v10, v5
	s_nop 1
	v_cndmask_b32_e32 v7, v7, v11, vcc
	v_cndmask_b32_e32 v8, v9, v8, vcc
	s_or_b64 exec, exec, s[0:1]
	v_cmp_lt_i32_e32 vcc, v7, v8
	s_and_saveexec_b64 s[0:1], vcc
	s_cbranch_execz .LBB29_59
.LBB29_63:
	v_sub_u32_e32 v9, v7, v8
	v_lshl_add_u32 v9, v8, 5, v9
	v_ashrrev_i32_e32 v9, 5, v9
	v_lshl_add_u32 v10, v9, 2, v2
	ds_read_b32 v10, v10 offset:1024
	v_add_u32_e32 v11, 1, v9
	s_waitcnt lgkmcnt(0)
	v_cmp_lt_i32_e32 vcc, v10, v5
	s_nop 1
	v_cndmask_b32_e32 v7, v7, v11, vcc
	v_cndmask_b32_e32 v8, v9, v8, vcc
	s_or_b64 exec, exec, s[0:1]
	v_cmp_lt_i32_e32 vcc, v7, v8
	s_and_saveexec_b64 s[0:1], vcc
	s_cbranch_execz .LBB29_60
.LBB29_64:
	v_sub_u32_e32 v9, v7, v8
	v_lshl_add_u32 v9, v8, 4, v9
	v_ashrrev_i32_e32 v9, 4, v9
	v_lshl_add_u32 v10, v9, 2, v2
	ds_read_b32 v10, v10 offset:1024
	v_add_u32_e32 v11, 1, v9
	s_waitcnt lgkmcnt(0)
	v_cmp_lt_i32_e32 vcc, v10, v5
	s_nop 1
	v_cndmask_b32_e32 v7, v7, v11, vcc
	v_cndmask_b32_e32 v8, v9, v8, vcc
	s_or_b64 exec, exec, s[0:1]
	v_cmp_lt_i32_e32 vcc, v7, v8
	s_and_saveexec_b64 s[0:1], vcc
	s_cbranch_execz .LBB29_68
.LBB29_65:
	s_mov_b64 s[4:5], 0
.LBB29_66:                              ; =>This Inner Loop Header: Depth=1
	v_sub_u32_e32 v9, v7, v8
	v_lshl_add_u32 v9, v8, 1, v9
	v_ashrrev_i32_e32 v9, 1, v9
	v_lshl_add_u32 v10, v9, 2, v2
	ds_read_b32 v10, v10 offset:1024
	v_add_u32_e32 v11, 1, v9
	s_waitcnt lgkmcnt(0)
	v_cmp_lt_i32_e32 vcc, v10, v5
	s_nop 1
	v_cndmask_b32_e32 v7, v7, v11, vcc
	v_cndmask_b32_e32 v8, v9, v8, vcc
	v_cmp_ge_i32_e32 vcc, v7, v8
	s_or_b64 s[4:5], vcc, s[4:5]
	s_andn2_b64 exec, exec, s[4:5]
	s_cbranch_execnz .LBB29_66
; %bb.67:
	s_or_b64 exec, exec, s[4:5]
.LBB29_68:
	s_or_b64 exec, exec, s[0:1]
	v_sub_u32_e32 v0, v0, v3
	v_sub_u32_e32 v8, v6, v7
	v_add_u32_e32 v2, v8, v0
	v_ashrrev_i32_e32 v0, 1, v2
	v_max_i32_e32 v0, v0, v8
	v_add3_u32 v7, v7, v0, 1
	v_min_i32_e32 v7, v7, v26
	v_sub_u32_e32 v7, v7, v6
	v_mov_b32_e32 v6, 0
	v_cmp_lt_i32_e32 vcc, 0, v7
	s_and_saveexec_b64 s[0:1], vcc
	s_cbranch_execz .LBB29_72
; %bb.69:
	v_mov_b32_e32 v6, 0
	s_mov_b64 s[4:5], 0
.LBB29_70:                              ; =>This Inner Loop Header: Depth=1
	v_add_u32_e32 v9, v6, v7
	v_lshrrev_b32_e32 v9, 1, v9
	v_lshl_add_u32 v10, v9, 2, v4
	ds_read_b32 v10, v10 offset:1024
	v_add_u32_e32 v11, 1, v9
	s_waitcnt lgkmcnt(0)
	v_cmp_lt_i32_e32 vcc, v5, v10
	s_nop 1
	v_cndmask_b32_e32 v6, v11, v6, vcc
	v_cndmask_b32_e32 v7, v7, v9, vcc
	v_cmp_ge_i32_e32 vcc, v6, v7
	s_or_b64 s[4:5], vcc, s[4:5]
	s_andn2_b64 exec, exec, s[4:5]
	s_cbranch_execnz .LBB29_70
; %bb.71:
	s_or_b64 exec, exec, s[4:5]
.LBB29_72:
	s_or_b64 exec, exec, s[0:1]
	v_add_u32_e32 v4, v6, v8
	s_waitcnt lgkmcnt(0)
	v_min_i32_e32 v5, v4, v0
	v_sub_u32_e32 v2, v2, v5
	v_add_u32_e32 v5, 1, v5
	v_cmp_eq_u32_e32 vcc, v2, v5
	v_cmp_lt_i32_e64 s[0:1], v0, v4
	s_and_b64 s[0:1], s[0:1], vcc
	v_add_u32_e32 v0, v2, v3
	v_cndmask_b32_e64 v4, 0, 1, s[0:1]
.LBB29_73:
	s_or_b64 exec, exec, s[2:3]
	v_add_u32_e32 v1, v4, v1
	v_sub_u32_e32 v1, v1, v0
	v_lshlrev_b32_e32 v2, 16, v25
	v_or_b32_e32 v2, v2, v26
	v_lshl_or_b32 v3, v0, 16, v1
	v_subrev_co_u32_e64 v4, s[0:1], 1, v24
	v_lshlrev_b32_e32 v6, 2, v0
	s_nop 0
	v_cndmask_b32_e64 v2, v3, v2, s[0:1]
	v_mov_b32_e32 v3, 0xff
	v_cndmask_b32_e64 v3, v4, v3, s[0:1]
	v_lshlrev_b32_e32 v3, 2, v3
	ds_write_b32 v3, v2 offset:18432
	v_add_u32_e32 v3, v1, v25
	s_waitcnt lgkmcnt(0)
	s_barrier
	v_lshlrev_b32_e32 v7, 2, v3
	ds_read_b32 v29, v6 offset:19456
	ds_read_b32 v4, v7 offset:19456
	ds_read_b32 v2, v27
	v_mov_b32_e32 v5, v0
	s_waitcnt lgkmcnt(2)
	v_mov_b32_e32 v28, v29
	s_waitcnt lgkmcnt(1)
	v_cmp_ge_i32_e32 vcc, v4, v29
	s_and_saveexec_b64 s[2:3], vcc
; %bb.74:
	v_add_u32_e32 v5, 0x4800, v6
	ds_read_b32 v28, v5 offset:1028
	v_add_u32_e32 v5, 1, v0
; %bb.75:
	s_or_b64 exec, exec, s[2:3]
	v_cmp_ge_i32_e32 vcc, v29, v4
	v_mov_b32_e32 v6, v4
	s_and_saveexec_b64 s[2:3], vcc
; %bb.76:
	v_add_u32_e32 v6, 0x4800, v7
	ds_read_b32 v6, v6 offset:1028
	v_add_u32_e32 v3, 1, v3
; %bb.77:
	s_or_b64 exec, exec, s[2:3]
	s_waitcnt lgkmcnt(0)
	v_cmp_ge_i32_e32 vcc, v6, v28
	v_mov_b32_e32 v30, v28
	v_mov_b32_e32 v7, v5
	s_and_saveexec_b64 s[2:3], vcc
; %bb.78:
	v_lshlrev_b32_e32 v7, 2, v5
	ds_read_b32 v30, v7 offset:19460
	v_add_u32_e32 v7, 1, v5
; %bb.79:
	s_or_b64 exec, exec, s[2:3]
	v_cmp_ge_i32_e32 vcc, v28, v6
	v_mov_b32_e32 v8, v6
	v_mov_b32_e32 v9, v3
	s_and_saveexec_b64 s[2:3], vcc
; %bb.80:
	v_lshlrev_b32_e32 v8, 2, v3
	ds_read_b32 v8, v8 offset:19460
	v_add_u32_e32 v9, 1, v3
; %bb.81:
	s_or_b64 exec, exec, s[2:3]
	s_waitcnt lgkmcnt(0)
	v_cmp_ge_i32_e32 vcc, v8, v30
	v_mov_b32_e32 v31, v30
	v_mov_b32_e32 v10, v7
	s_and_saveexec_b64 s[2:3], vcc
; %bb.82:
	v_lshlrev_b32_e32 v10, 2, v7
	ds_read_b32 v31, v10 offset:19460
	v_add_u32_e32 v10, 1, v7
; %bb.83:
	s_or_b64 exec, exec, s[2:3]
	v_cmp_ge_i32_e32 vcc, v30, v8
	v_mov_b32_e32 v11, v8
	v_mov_b32_e32 v12, v9
	s_and_saveexec_b64 s[2:3], vcc
; %bb.84:
	v_lshlrev_b32_e32 v11, 2, v9
	;; [unrolled: 21-line block ×14, first 2 shown]
	ds_read_b32 v72, v71 offset:19460
	v_add_u32_e32 v71, 1, v69
; %bb.133:
	s_or_b64 exec, exec, s[2:3]
	v_cmp_ge_i32_sdwa s[4:5], v70, sext(v2) src0_sel:DWORD src1_sel:WORD_1
	v_add_u32_sdwa v70, v2, v25 dst_sel:DWORD dst_unused:UNUSED_PAD src0_sel:WORD_0 src1_sel:DWORD
	v_cmp_ge_i32_e64 s[2:3], v71, v70
	s_waitcnt lgkmcnt(0)
	v_cmp_ne_u32_e32 vcc, v72, v43
	s_or_b64 s[2:3], s[4:5], s[2:3]
	v_mov_b32_e32 v71, 0x8000
	s_or_b64 s[2:3], vcc, s[2:3]
	v_cndmask_b32_e64 v71, v71, 0, s[2:3]
	v_cmp_ge_i32_sdwa s[4:5], v67, sext(v2) src0_sel:DWORD src1_sel:WORD_1
	v_cmp_ge_i32_e64 s[2:3], v69, v70
	v_cmp_ne_u32_e32 vcc, v68, v42
	s_or_b64 s[2:3], s[4:5], s[2:3]
	v_mov_b32_e32 v67, 0x4000
	s_or_b64 s[2:3], vcc, s[2:3]
	v_cndmask_b32_e64 v67, v67, 0, s[2:3]
	v_cmp_ge_i32_sdwa s[4:5], v64, sext(v2) src0_sel:DWORD src1_sel:WORD_1
	v_cmp_ge_i32_e64 s[2:3], v66, v70
	;; [unrolled: 7-line block ×9, first 2 shown]
	v_cmp_ne_u32_e32 vcc, v44, v34
	s_or_b64 s[2:3], s[4:5], s[2:3]
	s_or_b64 s[2:3], vcc, s[2:3]
	v_cndmask_b32_e64 v23, 64, 0, s[2:3]
	v_cmp_ge_i32_sdwa s[4:5], v20, sext(v2) src0_sel:DWORD src1_sel:WORD_1
	v_cmp_ge_i32_e64 s[2:3], v22, v70
	v_cmp_ne_u32_e32 vcc, v21, v33
	s_or_b64 s[2:3], s[4:5], s[2:3]
	s_or_b64 s[8:9], vcc, s[2:3]
	v_cmp_ge_i32_sdwa s[6:7], v13, sext(v2) src0_sel:DWORD src1_sel:WORD_1
	v_cmp_ge_i32_e64 s[2:3], v15, v70
	v_cmp_ne_u32_e32 vcc, v14, v32
	s_or_b64 s[2:3], s[6:7], s[2:3]
	s_or_b64 s[16:17], vcc, s[2:3]
	v_cmp_ge_i32_sdwa s[6:7], v10, sext(v2) src0_sel:DWORD src1_sel:WORD_1
	v_cmp_ge_i32_e64 s[2:3], v12, v70
	v_cmp_ne_u32_e32 vcc, v11, v31
	s_or_b64 s[2:3], s[6:7], s[2:3]
	s_or_b64 s[18:19], vcc, s[2:3]
	v_cmp_ge_i32_sdwa s[6:7], v7, sext(v2) src0_sel:DWORD src1_sel:WORD_1
	v_cmp_ge_i32_e64 s[2:3], v9, v70
	v_cmp_ne_u32_e32 vcc, v8, v30
	s_or_b64 s[2:3], s[6:7], s[2:3]
	s_or_b64 s[20:21], vcc, s[2:3]
	v_cmp_ge_i32_sdwa s[6:7], v5, sext(v2) src0_sel:DWORD src1_sel:WORD_1
	v_cmp_ge_i32_e64 s[2:3], v3, v70
	v_cmp_ne_u32_e32 vcc, v6, v28
	s_or_b64 s[2:3], s[6:7], s[2:3]
	s_or_b64 s[24:25], vcc, s[2:3]
	v_cmp_gt_i32_sdwa s[2:3], sext(v2), v0 src0_sel:WORD_1 src1_sel:DWORD
	v_cmp_gt_i32_sdwa s[6:7], v2, v1 src0_sel:WORD_0 src1_sel:DWORD
	v_cmp_eq_u32_e32 vcc, v4, v29
	s_and_b64 s[2:3], s[2:3], s[6:7]
	s_and_b64 s[22:23], s[2:3], vcc
	v_cndmask_b32_e64 v7, 4, 0, s[20:21]
	v_cndmask_b32_e64 v3, 2, 0, s[24:25]
	;; [unrolled: 1-line block ×5, first 2 shown]
	v_or3_b32 v0, v3, v0, v7
	v_cndmask_b32_e64 v20, 32, 0, s[8:9]
	v_or3_b32 v0, v0, v10, v13
	v_or3_b32 v49, v0, v20, v23
	v_or_b32_e32 v48, v46, v49
	v_or3_b32 v47, v50, v52, v48
	v_or3_b32 v46, v55, v58, v47
	;; [unrolled: 1-line block ×4, first 2 shown]
	s_mov_b64 s[4:5], -1
	v_bcnt_u32_b32 v8, v44, 0
	s_cmp_lg_u32 s14, 0
	v_mov_b32_e32 v9, 0
	s_barrier
	s_cbranch_scc0 .LBB29_161
; %bb.134:
	v_mbcnt_lo_u32_b32 v0, -1, 0
	v_mbcnt_hi_u32_b32 v22, -1, v0
	v_mov_b32_e32 v1, v9
	v_mov_b32_dpp v0, v8 row_shr:1 row_mask:0xf bank_mask:0xf
	v_and_b32_e32 v4, 15, v22
	v_mov_b32_dpp v3, v9 row_shr:1 row_mask:0xf bank_mask:0xf
	v_mov_b32_e32 v2, v9
	v_lshl_add_u64 v[0:1], v[0:1], 0, v[8:9]
	v_lshl_add_u64 v[2:3], v[2:3], 0, v[0:1]
	v_cmp_eq_u32_e32 vcc, 0, v4
	v_and_b32_e32 v7, 16, v22
	v_cmp_eq_u32_e64 s[2:3], 0, v22
	v_cndmask_b32_e64 v1, v3, 0, vcc
	v_cndmask_b32_e32 v5, v0, v8, vcc
	v_cndmask_b32_e32 v0, v2, v8, vcc
	v_mov_b32_dpp v3, v1 row_shr:2 row_mask:0xf bank_mask:0xf
	v_mov_b32_dpp v2, v5 row_shr:2 row_mask:0xf bank_mask:0xf
	v_lshl_add_u64 v[2:3], v[2:3], 0, v[0:1]
	v_cmp_lt_u32_e32 vcc, 1, v4
	v_cmp_ne_u32_e64 s[4:5], 0, v22
	s_nop 0
	v_cndmask_b32_e32 v1, v1, v3, vcc
	v_cndmask_b32_e32 v5, v5, v2, vcc
	;; [unrolled: 1-line block ×3, first 2 shown]
	v_mov_b32_dpp v3, v1 row_shr:4 row_mask:0xf bank_mask:0xf
	v_mov_b32_dpp v2, v5 row_shr:4 row_mask:0xf bank_mask:0xf
	v_lshl_add_u64 v[2:3], v[2:3], 0, v[0:1]
	v_cmp_lt_u32_e32 vcc, 3, v4
	s_nop 1
	v_cndmask_b32_e32 v1, v1, v3, vcc
	v_cndmask_b32_e32 v5, v5, v2, vcc
	;; [unrolled: 1-line block ×3, first 2 shown]
	v_mov_b32_dpp v3, v1 row_shr:8 row_mask:0xf bank_mask:0xf
	v_mov_b32_dpp v2, v5 row_shr:8 row_mask:0xf bank_mask:0xf
	v_lshl_add_u64 v[2:3], v[2:3], 0, v[0:1]
	v_cmp_lt_u32_e32 vcc, 7, v4
	s_nop 1
	v_cndmask_b32_e32 v3, v1, v3, vcc
	v_cndmask_b32_e32 v6, v5, v2, vcc
	;; [unrolled: 1-line block ×3, first 2 shown]
	v_mov_b32_dpp v1, v3 row_bcast:15 row_mask:0xf bank_mask:0xf
	v_mov_b32_dpp v0, v6 row_bcast:15 row_mask:0xf bank_mask:0xf
	v_lshl_add_u64 v[4:5], v[0:1], 0, v[2:3]
	v_cmp_eq_u32_e32 vcc, 0, v7
	s_nop 1
	v_cndmask_b32_e32 v0, v5, v3, vcc
	v_cndmask_b32_e32 v1, v4, v6, vcc
	s_nop 0
	v_mov_b32_dpp v7, v0 row_bcast:31 row_mask:0xf bank_mask:0xf
	v_mov_b32_dpp v6, v1 row_bcast:31 row_mask:0xf bank_mask:0xf
	v_mov_b64_e32 v[0:1], v[8:9]
	s_and_saveexec_b64 s[6:7], s[4:5]
; %bb.135:
	v_cndmask_b32_e32 v1, v5, v3, vcc
	v_cndmask_b32_e32 v0, v4, v2, vcc
	v_cmp_lt_u32_e32 vcc, 31, v22
	s_nop 1
	v_cndmask_b32_e32 v3, 0, v7, vcc
	v_cndmask_b32_e32 v2, 0, v6, vcc
	v_lshl_add_u64 v[0:1], v[2:3], 0, v[0:1]
; %bb.136:
	s_or_b64 exec, exec, s[6:7]
	v_and_b32_e32 v3, 0x3c0, v24
	v_min_u32_e32 v3, 0xc0, v3
	v_lshrrev_b32_e32 v2, 6, v24
	v_or_b32_e32 v3, 63, v3
	v_cmp_eq_u32_e32 vcc, v24, v3
	v_lshlrev_b32_e32 v2, 3, v2
	s_and_saveexec_b64 s[4:5], vcc
; %bb.137:
	ds_write_b64 v2, v[0:1] offset:18432
; %bb.138:
	s_or_b64 exec, exec, s[4:5]
	v_cmp_gt_u32_e32 vcc, 4, v24
	s_waitcnt lgkmcnt(0)
	s_barrier
	s_and_saveexec_b64 s[6:7], vcc
	s_cbranch_execz .LBB29_140
; %bb.139:
	v_lshlrev_b32_e32 v3, 3, v24
	ds_read_b64 v[4:5], v3 offset:18432
	v_mov_b32_e32 v6, 0
	v_mov_b32_e32 v11, v6
	v_and_b32_e32 v12, 3, v22
	v_cmp_eq_u32_e32 vcc, 0, v12
	s_waitcnt lgkmcnt(0)
	v_mov_b32_dpp v10, v4 row_shr:1 row_mask:0xf bank_mask:0xf
	v_mov_b32_dpp v7, v5 row_shr:1 row_mask:0xf bank_mask:0xf
	v_lshl_add_u64 v[10:11], v[4:5], 0, v[10:11]
	v_lshl_add_u64 v[6:7], v[6:7], 0, v[10:11]
	v_cndmask_b32_e32 v11, v7, v5, vcc
	v_cndmask_b32_e32 v10, v10, v4, vcc
	v_cmp_ne_u32_e64 s[4:5], 1, v12
	v_mov_b32_dpp v11, v11 row_shr:2 row_mask:0xf bank_mask:0xf
	v_mov_b32_dpp v10, v10 row_shr:2 row_mask:0xf bank_mask:0xf
	v_cndmask_b32_e64 v10, 0, v10, s[4:5]
	v_cndmask_b32_e64 v11, 0, v11, s[4:5]
	v_lshl_add_u64 v[6:7], v[10:11], 0, v[6:7]
	v_cndmask_b32_e32 v5, v7, v5, vcc
	v_cndmask_b32_e32 v4, v6, v4, vcc
	ds_write_b64 v3, v[4:5] offset:18432
.LBB29_140:
	s_or_b64 exec, exec, s[6:7]
	v_cmp_gt_u32_e32 vcc, 64, v24
	v_cmp_lt_u32_e64 s[4:5], 63, v24
	s_waitcnt lgkmcnt(0)
	s_barrier
                                        ; implicit-def: $vgpr10_vgpr11
	s_and_saveexec_b64 s[6:7], s[4:5]
	s_cbranch_execz .LBB29_142
; %bb.141:
	ds_read_b64 v[10:11], v2 offset:18424
	s_waitcnt lgkmcnt(0)
	v_lshl_add_u64 v[0:1], v[10:11], 0, v[0:1]
.LBB29_142:
	s_or_b64 exec, exec, s[6:7]
	v_add_u32_e32 v1, -1, v22
	v_and_b32_e32 v2, 64, v22
	v_cmp_lt_i32_e64 s[4:5], v1, v2
	s_nop 1
	v_cndmask_b32_e64 v1, v1, v22, s[4:5]
	v_lshlrev_b32_e32 v1, 2, v1
	ds_bpermute_b32 v50, v1, v0
	s_and_saveexec_b64 s[26:27], vcc
	s_cbranch_execz .LBB29_166
; %bb.143:
	v_mov_b32_e32 v3, 0
	ds_read_b64 v[0:1], v3 offset:18456
	s_and_saveexec_b64 s[4:5], s[2:3]
	s_cbranch_execz .LBB29_145
; %bb.144:
	s_add_i32 s6, s14, 64
	s_mov_b32 s7, 0
	s_lshl_b64 s[6:7], s[6:7], 4
	s_add_u32 s6, s12, s6
	s_addc_u32 s7, s13, s7
	v_mov_b32_e32 v2, 1
	v_mov_b64_e32 v[4:5], s[6:7]
	s_waitcnt lgkmcnt(0)
	;;#ASMSTART
	global_store_dwordx4 v[4:5], v[0:3] off sc1	
s_waitcnt vmcnt(0)
	;;#ASMEND
.LBB29_145:
	s_or_b64 exec, exec, s[4:5]
	v_xad_u32 v12, v22, -1, s14
	v_add_u32_e32 v2, 64, v12
	v_lshl_add_u64 v[14:15], v[2:3], 4, s[12:13]
	;;#ASMSTART
	global_load_dwordx4 v[4:7], v[14:15] off sc1	
s_waitcnt vmcnt(0)
	;;#ASMEND
	s_nop 0
	v_cmp_eq_u16_sdwa s[6:7], v6, v3 src0_sel:BYTE_0 src1_sel:DWORD
	s_and_saveexec_b64 s[4:5], s[6:7]
	s_cbranch_execz .LBB29_149
; %bb.146:
	s_mov_b64 s[6:7], 0
	v_mov_b32_e32 v2, 0
.LBB29_147:                             ; =>This Inner Loop Header: Depth=1
	;;#ASMSTART
	global_load_dwordx4 v[4:7], v[14:15] off sc1	
s_waitcnt vmcnt(0)
	;;#ASMEND
	s_nop 0
	v_cmp_ne_u16_sdwa s[28:29], v6, v2 src0_sel:BYTE_0 src1_sel:DWORD
	s_or_b64 s[6:7], s[28:29], s[6:7]
	s_andn2_b64 exec, exec, s[6:7]
	s_cbranch_execnz .LBB29_147
; %bb.148:
	s_or_b64 exec, exec, s[6:7]
.LBB29_149:
	s_or_b64 exec, exec, s[4:5]
	v_mov_b32_e32 v51, 2
	v_cmp_eq_u16_sdwa s[4:5], v6, v51 src0_sel:BYTE_0 src1_sel:DWORD
	v_lshlrev_b64 v[14:15], v22, -1
	v_and_b32_e32 v52, 63, v22
	v_and_b32_e32 v2, s5, v15
	v_or_b32_e32 v2, 0x80000000, v2
	v_and_b32_e32 v3, s4, v14
	v_ffbl_b32_e32 v2, v2
	v_add_u32_e32 v2, 32, v2
	v_ffbl_b32_e32 v3, v3
	v_cmp_ne_u32_e32 vcc, 63, v52
	v_min_u32_e32 v7, v3, v2
	v_mov_b32_e32 v13, 0
	v_addc_co_u32_e32 v2, vcc, 0, v22, vcc
	v_lshlrev_b32_e32 v53, 2, v2
	ds_bpermute_b32 v2, v53, v4
	ds_bpermute_b32 v21, v53, v5
	v_mov_b32_e32 v3, v13
	v_mov_b32_e32 v20, v13
	v_cmp_lt_u32_e64 s[4:5], v52, v7
	s_waitcnt lgkmcnt(1)
	v_lshl_add_u64 v[2:3], v[4:5], 0, v[2:3]
	v_cmp_gt_u32_e32 vcc, 62, v52
	s_waitcnt lgkmcnt(0)
	v_lshl_add_u64 v[20:21], v[20:21], 0, v[2:3]
	v_cndmask_b32_e64 v23, v4, v2, s[4:5]
	v_cndmask_b32_e64 v2, 0, 2, vcc
	v_cndmask_b32_e64 v3, v5, v21, s[4:5]
	v_add_lshl_u32 v54, v2, v22, 2
	ds_bpermute_b32 v56, v54, v23
	ds_bpermute_b32 v57, v54, v3
	v_cndmask_b32_e64 v2, v4, v20, s[4:5]
	v_add_u32_e32 v55, 2, v52
	v_cmp_gt_u32_e32 vcc, v55, v7
	v_cmp_gt_u32_e64 s[6:7], 60, v52
	s_waitcnt lgkmcnt(0)
	v_lshl_add_u64 v[20:21], v[56:57], 0, v[2:3]
	v_cndmask_b32_e32 v3, v21, v3, vcc
	v_cndmask_b32_e64 v21, 0, 4, s[6:7]
	v_cndmask_b32_e32 v23, v20, v23, vcc
	v_add_lshl_u32 v56, v21, v22, 2
	ds_bpermute_b32 v58, v56, v23
	ds_bpermute_b32 v59, v56, v3
	v_cndmask_b32_e32 v2, v20, v2, vcc
	v_add_u32_e32 v57, 4, v52
	v_cmp_gt_u32_e32 vcc, v57, v7
	v_cmp_gt_u32_e64 s[6:7], 56, v52
	s_waitcnt lgkmcnt(0)
	v_lshl_add_u64 v[20:21], v[58:59], 0, v[2:3]
	v_cndmask_b32_e32 v3, v21, v3, vcc
	v_cndmask_b32_e64 v21, 0, 8, s[6:7]
	v_cndmask_b32_e32 v23, v20, v23, vcc
	v_add_lshl_u32 v58, v21, v22, 2
	ds_bpermute_b32 v60, v58, v23
	ds_bpermute_b32 v61, v58, v3
	v_cndmask_b32_e32 v2, v20, v2, vcc
	;; [unrolled: 12-line block ×3, first 2 shown]
	v_add_u32_e32 v61, 16, v52
	v_cmp_gt_u32_e32 vcc, v61, v7
	s_waitcnt lgkmcnt(0)
	v_lshl_add_u64 v[20:21], v[62:63], 0, v[2:3]
	v_mov_b32_e32 v62, 0x80
	v_cndmask_b32_e32 v63, v21, v3, vcc
	v_cndmask_b32_e32 v23, v20, v23, vcc
	v_lshl_or_b32 v62, v22, 2, v62
	ds_bpermute_b32 v22, v62, v23
	ds_bpermute_b32 v23, v62, v63
	v_add_u32_e32 v63, 32, v52
	s_and_saveexec_b64 s[6:7], s[4:5]
	s_cbranch_execz .LBB29_151
; %bb.150:
	v_cndmask_b32_e32 v3, v21, v3, vcc
	v_cndmask_b32_e32 v2, v20, v2, vcc
	v_cmp_le_u32_e32 vcc, v63, v7
	s_waitcnt lgkmcnt(0)
	s_nop 0
	v_cndmask_b32_e32 v5, 0, v23, vcc
	v_cndmask_b32_e32 v4, 0, v22, vcc
	v_lshl_add_u64 v[4:5], v[4:5], 0, v[2:3]
.LBB29_151:
	s_or_b64 exec, exec, s[6:7]
	s_branch .LBB29_154
.LBB29_152:                             ;   in Loop: Header=BB29_154 Depth=1
	s_or_b64 exec, exec, s[6:7]
	v_subrev_u32_e32 v12, 64, v12
	v_lshl_add_u64 v[4:5], v[4:5], 0, v[2:3]
	s_mov_b64 s[4:5], 0
.LBB29_153:                             ;   in Loop: Header=BB29_154 Depth=1
	s_and_b64 vcc, exec, s[4:5]
	s_cbranch_vccnz .LBB29_162
.LBB29_154:                             ; =>This Loop Header: Depth=1
                                        ;     Child Loop BB29_157 Depth 2
	v_cmp_ne_u16_sdwa s[4:5], v6, v51 src0_sel:BYTE_0 src1_sel:DWORD
	v_mov_b64_e32 v[2:3], v[4:5]
	s_cmp_lg_u64 s[4:5], exec
	s_mov_b64 s[4:5], -1
                                        ; implicit-def: $vgpr4_vgpr5
	s_cbranch_scc1 .LBB29_153
; %bb.155:                              ;   in Loop: Header=BB29_154 Depth=1
	v_lshl_add_u64 v[20:21], v[12:13], 4, s[12:13]
	;;#ASMSTART
	global_load_dwordx4 v[4:7], v[20:21] off sc1	
s_waitcnt vmcnt(0)
	;;#ASMEND
	s_nop 0
	v_cmp_eq_u16_sdwa s[6:7], v6, v13 src0_sel:BYTE_0 src1_sel:DWORD
	s_and_saveexec_b64 s[4:5], s[6:7]
	s_cbranch_execz .LBB29_159
; %bb.156:                              ;   in Loop: Header=BB29_154 Depth=1
	s_mov_b64 s[6:7], 0
.LBB29_157:                             ;   Parent Loop BB29_154 Depth=1
                                        ; =>  This Inner Loop Header: Depth=2
	;;#ASMSTART
	global_load_dwordx4 v[4:7], v[20:21] off sc1	
s_waitcnt vmcnt(0)
	;;#ASMEND
	s_nop 0
	v_cmp_ne_u16_sdwa s[28:29], v6, v13 src0_sel:BYTE_0 src1_sel:DWORD
	s_or_b64 s[6:7], s[28:29], s[6:7]
	s_andn2_b64 exec, exec, s[6:7]
	s_cbranch_execnz .LBB29_157
; %bb.158:                              ;   in Loop: Header=BB29_154 Depth=1
	s_or_b64 exec, exec, s[6:7]
.LBB29_159:                             ;   in Loop: Header=BB29_154 Depth=1
	s_or_b64 exec, exec, s[4:5]
	v_cmp_eq_u16_sdwa s[4:5], v6, v51 src0_sel:BYTE_0 src1_sel:DWORD
	s_waitcnt lgkmcnt(0)
	ds_bpermute_b32 v23, v53, v5
	v_mov_b32_e32 v22, v13
	v_and_b32_e32 v20, s4, v14
	v_and_b32_e32 v7, s5, v15
	v_ffbl_b32_e32 v21, v20
	ds_bpermute_b32 v20, v53, v4
	v_or_b32_e32 v7, 0x80000000, v7
	v_ffbl_b32_e32 v7, v7
	v_add_u32_e32 v7, 32, v7
	v_min_u32_e32 v7, v21, v7
	v_mov_b32_e32 v21, v13
	s_waitcnt lgkmcnt(0)
	v_lshl_add_u64 v[20:21], v[4:5], 0, v[20:21]
	v_lshl_add_u64 v[22:23], v[22:23], 0, v[20:21]
	v_cmp_lt_u32_e64 s[4:5], v52, v7
	v_cmp_gt_u32_e32 vcc, v55, v7
	s_nop 0
	v_cndmask_b32_e64 v66, v4, v20, s[4:5]
	v_cndmask_b32_e64 v21, v5, v23, s[4:5]
	ds_bpermute_b32 v64, v54, v66
	ds_bpermute_b32 v65, v54, v21
	v_cndmask_b32_e64 v20, v4, v22, s[4:5]
	s_waitcnt lgkmcnt(0)
	v_lshl_add_u64 v[22:23], v[64:65], 0, v[20:21]
	v_cndmask_b32_e32 v66, v22, v66, vcc
	v_cndmask_b32_e32 v21, v23, v21, vcc
	ds_bpermute_b32 v64, v56, v66
	ds_bpermute_b32 v65, v56, v21
	v_cndmask_b32_e32 v20, v22, v20, vcc
	v_cmp_gt_u32_e32 vcc, v57, v7
	s_waitcnt lgkmcnt(0)
	v_lshl_add_u64 v[22:23], v[64:65], 0, v[20:21]
	v_cndmask_b32_e32 v66, v22, v66, vcc
	v_cndmask_b32_e32 v21, v23, v21, vcc
	ds_bpermute_b32 v64, v58, v66
	ds_bpermute_b32 v65, v58, v21
	v_cndmask_b32_e32 v20, v22, v20, vcc
	v_cmp_gt_u32_e32 vcc, v59, v7
	;; [unrolled: 8-line block ×3, first 2 shown]
	s_waitcnt lgkmcnt(0)
	v_lshl_add_u64 v[22:23], v[64:65], 0, v[20:21]
	v_cndmask_b32_e32 v65, v23, v21, vcc
	v_cndmask_b32_e32 v64, v22, v66, vcc
	ds_bpermute_b32 v64, v62, v64
	ds_bpermute_b32 v65, v62, v65
	s_and_saveexec_b64 s[6:7], s[4:5]
	s_cbranch_execz .LBB29_152
; %bb.160:                              ;   in Loop: Header=BB29_154 Depth=1
	v_cndmask_b32_e32 v5, v23, v21, vcc
	v_cndmask_b32_e32 v4, v22, v20, vcc
	v_cmp_le_u32_e32 vcc, v63, v7
	s_waitcnt lgkmcnt(0)
	s_nop 0
	v_cndmask_b32_e32 v21, 0, v65, vcc
	v_cndmask_b32_e32 v20, 0, v64, vcc
	v_lshl_add_u64 v[4:5], v[20:21], 0, v[4:5]
	s_branch .LBB29_152
.LBB29_161:
                                        ; implicit-def: $vgpr0_vgpr1
                                        ; implicit-def: $vgpr4_vgpr5
	s_movk_i32 s15, 0x4820
	s_and_b64 vcc, exec, s[4:5]
	s_cbranch_vccnz .LBB29_167
	s_branch .LBB29_176
.LBB29_162:
	s_and_saveexec_b64 s[4:5], s[2:3]
	s_cbranch_execz .LBB29_164
; %bb.163:
	s_add_i32 s6, s14, 64
	s_mov_b32 s7, 0
	s_lshl_b64 s[6:7], s[6:7], 4
	s_add_u32 s6, s12, s6
	s_addc_u32 s7, s13, s7
	v_lshl_add_u64 v[4:5], v[2:3], 0, v[0:1]
	v_mov_b32_e32 v6, 2
	v_mov_b32_e32 v7, 0
	v_mov_b64_e32 v[12:13], s[6:7]
	;;#ASMSTART
	global_store_dwordx4 v[12:13], v[4:7] off sc1	
s_waitcnt vmcnt(0)
	;;#ASMEND
	ds_write_b128 v7, v[0:3] offset:18464
.LBB29_164:
	s_or_b64 exec, exec, s[4:5]
	s_and_b64 exec, exec, s[0:1]
; %bb.165:
	v_mov_b32_e32 v0, 0
	ds_write_b64 v0, v[2:3] offset:18456
.LBB29_166:
	s_or_b64 exec, exec, s[26:27]
	v_mov_b32_e32 v0, 0
	s_waitcnt lgkmcnt(0)
	s_barrier
	ds_read_b64 v[2:3], v0 offset:18456
	s_waitcnt lgkmcnt(0)
	s_barrier
	ds_read_b64 v[0:1], v0 offset:18472
	v_cndmask_b32_e64 v4, v50, v10, s[2:3]
	v_cndmask_b32_e64 v5, 0, v11, s[2:3]
	;; [unrolled: 1-line block ×4, first 2 shown]
	v_lshl_add_u64 v[4:5], v[2:3], 0, v[4:5]
	s_movk_i32 s15, 0x4820
	s_branch .LBB29_176
.LBB29_167:
	s_waitcnt lgkmcnt(0)
	v_mov_b32_e32 v0, 0
	v_mbcnt_lo_u32_b32 v1, -1, 0
	v_mbcnt_hi_u32_b32 v4, -1, v1
	v_mov_b32_dpp v2, v8 row_shr:1 row_mask:0xf bank_mask:0xf
	v_mov_b32_e32 v3, v0
	v_and_b32_e32 v5, 15, v4
	v_mov_b32_dpp v1, v0 row_shr:1 row_mask:0xf bank_mask:0xf
	v_lshl_add_u64 v[2:3], v[2:3], 0, v[8:9]
	v_lshl_add_u64 v[0:1], v[0:1], 0, v[2:3]
	v_cmp_eq_u32_e32 vcc, 0, v5
	v_cmp_ne_u32_e64 s[4:5], 0, v4
	s_nop 0
	v_cndmask_b32_e64 v1, v1, 0, vcc
	v_cndmask_b32_e32 v6, v2, v8, vcc
	v_cndmask_b32_e32 v0, v0, v8, vcc
	v_mov_b32_dpp v3, v1 row_shr:2 row_mask:0xf bank_mask:0xf
	v_mov_b32_dpp v2, v6 row_shr:2 row_mask:0xf bank_mask:0xf
	v_lshl_add_u64 v[2:3], v[2:3], 0, v[0:1]
	v_cmp_lt_u32_e32 vcc, 1, v5
	s_nop 1
	v_cndmask_b32_e32 v1, v1, v3, vcc
	v_cndmask_b32_e32 v6, v6, v2, vcc
	v_cndmask_b32_e32 v0, v0, v2, vcc
	v_mov_b32_dpp v3, v1 row_shr:4 row_mask:0xf bank_mask:0xf
	v_mov_b32_dpp v2, v6 row_shr:4 row_mask:0xf bank_mask:0xf
	v_lshl_add_u64 v[2:3], v[2:3], 0, v[0:1]
	v_cmp_lt_u32_e32 vcc, 3, v5
	s_nop 1
	v_cndmask_b32_e32 v1, v1, v3, vcc
	;; [unrolled: 8-line block ×3, first 2 shown]
	v_cndmask_b32_e32 v5, v6, v2, vcc
	v_cndmask_b32_e32 v0, v0, v2, vcc
	v_mov_b32_dpp v3, v1 row_bcast:15 row_mask:0xf bank_mask:0xf
	v_mov_b32_dpp v2, v5 row_bcast:15 row_mask:0xf bank_mask:0xf
	v_and_b32_e32 v6, 16, v4
	v_lshl_add_u64 v[2:3], v[2:3], 0, v[0:1]
	v_cmp_eq_u32_e64 s[2:3], 0, v6
	v_cmp_eq_u32_e32 vcc, 0, v4
	s_nop 0
	v_cndmask_b32_e64 v6, v3, v1, s[2:3]
	v_cndmask_b32_e64 v5, v2, v5, s[2:3]
	s_nop 0
	v_mov_b32_dpp v6, v6 row_bcast:31 row_mask:0xf bank_mask:0xf
	v_mov_b32_dpp v5, v5 row_bcast:31 row_mask:0xf bank_mask:0xf
	s_and_saveexec_b64 s[6:7], s[4:5]
; %bb.168:
	v_cndmask_b32_e64 v1, v3, v1, s[2:3]
	v_cndmask_b32_e64 v0, v2, v0, s[2:3]
	v_cmp_lt_u32_e64 s[2:3], 31, v4
	s_nop 1
	v_cndmask_b32_e64 v3, 0, v6, s[2:3]
	v_cndmask_b32_e64 v2, 0, v5, s[2:3]
	v_lshl_add_u64 v[8:9], v[2:3], 0, v[0:1]
; %bb.169:
	s_or_b64 exec, exec, s[6:7]
	v_and_b32_e32 v1, 0x3c0, v24
	v_min_u32_e32 v1, 0xc0, v1
	v_lshrrev_b32_e32 v0, 6, v24
	v_or_b32_e32 v1, 63, v1
	v_cmp_eq_u32_e64 s[2:3], v24, v1
	v_lshlrev_b32_e32 v5, 3, v0
	s_and_saveexec_b64 s[4:5], s[2:3]
; %bb.170:
	ds_write_b64 v5, v[8:9] offset:18432
; %bb.171:
	s_or_b64 exec, exec, s[4:5]
	v_cmp_gt_u32_e64 s[2:3], 4, v24
	s_waitcnt lgkmcnt(0)
	s_barrier
	s_and_saveexec_b64 s[6:7], s[2:3]
	s_cbranch_execz .LBB29_173
; %bb.172:
	v_lshl_add_u32 v9, v24, 2, v27
	ds_read_b64 v[0:1], v9
	v_mov_b32_e32 v2, 0
	v_mov_b32_e32 v7, v2
	v_and_b32_e32 v10, 3, v4
	v_cmp_eq_u32_e64 s[2:3], 0, v10
	s_waitcnt lgkmcnt(0)
	v_mov_b32_dpp v6, v0 row_shr:1 row_mask:0xf bank_mask:0xf
	v_mov_b32_dpp v3, v1 row_shr:1 row_mask:0xf bank_mask:0xf
	v_lshl_add_u64 v[6:7], v[0:1], 0, v[6:7]
	v_lshl_add_u64 v[2:3], v[2:3], 0, v[6:7]
	v_cndmask_b32_e64 v7, v3, v1, s[2:3]
	v_cndmask_b32_e64 v6, v6, v0, s[2:3]
	v_cmp_ne_u32_e64 s[4:5], 1, v10
	v_mov_b32_dpp v7, v7 row_shr:2 row_mask:0xf bank_mask:0xf
	v_mov_b32_dpp v6, v6 row_shr:2 row_mask:0xf bank_mask:0xf
	v_cndmask_b32_e64 v6, 0, v6, s[4:5]
	v_cndmask_b32_e64 v7, 0, v7, s[4:5]
	v_lshl_add_u64 v[2:3], v[6:7], 0, v[2:3]
	v_cndmask_b32_e64 v1, v3, v1, s[2:3]
	v_cndmask_b32_e64 v0, v2, v0, s[2:3]
	ds_write_b64 v9, v[0:1]
.LBB29_173:
	s_or_b64 exec, exec, s[6:7]
	v_cmp_lt_u32_e64 s[2:3], 63, v24
	v_mov_b64_e32 v[0:1], 0
	v_mov_b64_e32 v[2:3], 0
	s_waitcnt lgkmcnt(0)
	s_barrier
	s_and_saveexec_b64 s[4:5], s[2:3]
; %bb.174:
	ds_read_b64 v[2:3], v5 offset:18424
; %bb.175:
	s_or_b64 exec, exec, s[4:5]
	v_add_u32_e32 v5, -1, v4
	v_and_b32_e32 v6, 64, v4
	v_cmp_lt_i32_e64 s[2:3], v5, v6
	s_waitcnt lgkmcnt(0)
	v_add_u32_e32 v3, v2, v8
	s_movk_i32 s15, 0x4818
	v_cndmask_b32_e64 v4, v5, v4, s[2:3]
	v_lshlrev_b32_e32 v4, 2, v4
	ds_bpermute_b32 v3, v4, v3
	s_waitcnt lgkmcnt(0)
	v_cndmask_b32_e32 v4, v3, v2, vcc
.LBB29_176:
	v_mov_b32_e32 v2, s15
	ds_read_b64 v[2:3], v2
	s_xor_b64 s[2:3], s[8:9], -1
	s_xor_b64 s[4:5], s[16:17], -1
	;; [unrolled: 1-line block ×5, first 2 shown]
	s_waitcnt lgkmcnt(1)
	v_sub_u32_e32 v4, v4, v0
	s_waitcnt lgkmcnt(0)
	s_barrier
	s_and_saveexec_b64 s[18:19], s[22:23]
	s_cbranch_execnz .LBB29_218
; %bb.177:
	s_or_b64 exec, exec, s[18:19]
	s_and_saveexec_b64 s[18:19], s[16:17]
	s_cbranch_execnz .LBB29_219
.LBB29_178:
	s_or_b64 exec, exec, s[18:19]
	s_and_saveexec_b64 s[16:17], s[8:9]
	s_cbranch_execnz .LBB29_220
.LBB29_179:
	s_or_b64 exec, exec, s[16:17]
	s_and_saveexec_b64 s[8:9], s[6:7]
	s_cbranch_execnz .LBB29_221
.LBB29_180:
	s_or_b64 exec, exec, s[8:9]
	s_and_saveexec_b64 s[6:7], s[4:5]
	s_cbranch_execnz .LBB29_222
.LBB29_181:
	s_or_b64 exec, exec, s[6:7]
	s_and_saveexec_b64 s[4:5], s[2:3]
.LBB29_182:
	v_lshlrev_b32_e32 v5, 2, v4
	v_add_u32_e32 v4, 1, v4
	ds_write_b32 v5, v33 offset:19456
.LBB29_183:
	s_or_b64 exec, exec, s[4:5]
	v_and_b32_e32 v5, 64, v49
	v_cmp_ne_u32_e32 vcc, 0, v5
	s_and_saveexec_b64 s[2:3], vcc
; %bb.184:
	v_lshlrev_b32_e32 v5, 2, v4
	v_add_u32_e32 v4, 1, v4
	ds_write_b32 v5, v34 offset:19456
; %bb.185:
	s_or_b64 exec, exec, s[2:3]
	v_and_b32_e32 v5, 0x80, v48
	v_cmp_ne_u32_e32 vcc, 0, v5
	s_and_saveexec_b64 s[2:3], vcc
; %bb.186:
	v_lshlrev_b32_e32 v5, 2, v4
	v_add_u32_e32 v4, 1, v4
	ds_write_b32 v5, v35 offset:19456
; %bb.187:
	;; [unrolled: 9-line block ×9, first 2 shown]
	s_or_b64 exec, exec, s[2:3]
	v_and_b32_e32 v5, 0x8000, v44
	v_cmp_ne_u32_e32 vcc, 0, v5
	s_and_saveexec_b64 s[2:3], vcc
; %bb.202:
	v_lshlrev_b32_e32 v4, 2, v4
	ds_write_b32 v4, v43 offset:19456
; %bb.203:
	s_or_b64 exec, exec, s[2:3]
	s_waitcnt lgkmcnt(0)
	s_barrier
	s_and_saveexec_b64 s[2:3], s[0:1]
	s_cbranch_execz .LBB29_205
; %bb.204:
	v_mov_b32_e32 v4, 0
	v_lshl_add_u64 v[0:1], v[2:3], 0, v[0:1]
	global_store_dwordx2 v4, v[0:1], s[10:11]
.LBB29_205:
	s_or_b64 exec, exec, s[2:3]
	s_branch .LBB29_6
.LBB29_206:
	v_mov_b32_e32 v9, 0
	v_lshlrev_b32_e32 v8, 2, v24
	v_sub_u32_e32 v2, v24, v25
	v_mov_b32_e32 v3, v9
	v_lshl_add_u64 v[0:1], v[18:19], 0, v[8:9]
	v_lshl_add_u64 v[2:3], v[2:3], 2, v[16:17]
	v_cmp_lt_i32_e32 vcc, v24, v25
	s_mov_b64 s[0:1], 0x400
	v_mov_b32_e32 v7, v9
	v_cndmask_b32_e32 v3, v3, v1, vcc
	v_cndmask_b32_e32 v2, v2, v0, vcc
	global_load_dword v2, v[2:3], off
	v_add_u32_e32 v3, 0x100, v24
	v_sub_u32_e32 v6, v3, v25
	v_lshl_add_u64 v[4:5], v[0:1], 0, s[0:1]
	v_lshl_add_u64 v[6:7], v[6:7], 2, v[16:17]
	v_cmp_lt_i32_e32 vcc, v3, v25
	v_add_u32_e32 v10, 0x200, v24
	s_mov_b64 s[0:1], 0x800
	v_cndmask_b32_e32 v5, v7, v5, vcc
	v_cndmask_b32_e32 v4, v6, v4, vcc
	v_sub_u32_e32 v6, v10, v25
	v_mov_b32_e32 v7, v9
	global_load_dword v3, v[4:5], off
	v_lshl_add_u64 v[4:5], v[0:1], 0, s[0:1]
	v_lshl_add_u64 v[6:7], v[6:7], 2, v[16:17]
	v_cmp_lt_i32_e32 vcc, v10, v25
	s_mov_b64 s[0:1], 0xc00
	v_mov_b32_e32 v11, v9
	v_cndmask_b32_e32 v5, v7, v5, vcc
	v_cndmask_b32_e32 v4, v6, v4, vcc
	global_load_dword v4, v[4:5], off
	v_add_u32_e32 v5, 0x300, v24
	v_sub_u32_e32 v10, v5, v25
	v_lshl_add_u64 v[6:7], v[0:1], 0, s[0:1]
	v_lshl_add_u64 v[10:11], v[10:11], 2, v[16:17]
	v_cmp_lt_i32_e32 vcc, v5, v25
	v_or_b32_e32 v12, 0x400, v24
	s_mov_b64 s[0:1], 0x1400
	v_cndmask_b32_e32 v7, v11, v7, vcc
	v_cndmask_b32_e32 v6, v10, v6, vcc
	global_load_dword v5, v[6:7], off
	v_lshlrev_b32_e32 v6, 2, v12
	v_mov_b32_e32 v7, v9
	v_sub_u32_e32 v10, v12, v25
	v_mov_b32_e32 v11, v9
	v_lshl_add_u64 v[6:7], v[18:19], 0, v[6:7]
	v_lshl_add_u64 v[10:11], v[10:11], 2, v[16:17]
	v_cmp_lt_i32_e32 vcc, v12, v25
	v_mov_b32_e32 v13, v9
	v_add_u32_e32 v14, 0x600, v24
	v_cndmask_b32_e32 v7, v11, v7, vcc
	v_cndmask_b32_e32 v6, v10, v6, vcc
	global_load_dword v6, v[6:7], off
	v_add_u32_e32 v7, 0x500, v24
	v_sub_u32_e32 v12, v7, v25
	v_lshl_add_u64 v[10:11], v[0:1], 0, s[0:1]
	v_lshl_add_u64 v[12:13], v[12:13], 2, v[16:17]
	v_cmp_lt_i32_e32 vcc, v7, v25
	s_mov_b64 s[0:1], 0x1800
	v_mov_b32_e32 v15, v9
	v_cndmask_b32_e32 v11, v13, v11, vcc
	v_cndmask_b32_e32 v10, v12, v10, vcc
	v_sub_u32_e32 v12, v14, v25
	v_mov_b32_e32 v13, v9
	global_load_dword v7, v[10:11], off
	v_lshl_add_u64 v[10:11], v[0:1], 0, s[0:1]
	v_lshl_add_u64 v[12:13], v[12:13], 2, v[16:17]
	v_cmp_lt_i32_e32 vcc, v14, v25
	s_mov_b64 s[0:1], 0x1c00
	v_or_b32_e32 v20, 0x800, v24
	v_cndmask_b32_e32 v11, v13, v11, vcc
	v_cndmask_b32_e32 v10, v12, v10, vcc
	global_load_dword v10, v[10:11], off
	v_add_u32_e32 v11, 0x700, v24
	v_sub_u32_e32 v14, v11, v25
	v_lshl_add_u64 v[12:13], v[0:1], 0, s[0:1]
	v_lshl_add_u64 v[14:15], v[14:15], 2, v[16:17]
	v_cmp_lt_i32_e32 vcc, v11, v25
	s_mov_b64 s[0:1], 0x2400
	v_mov_b32_e32 v21, v9
	v_cndmask_b32_e32 v13, v15, v13, vcc
	v_cndmask_b32_e32 v12, v14, v12, vcc
	global_load_dword v11, v[12:13], off
	v_lshlrev_b32_e32 v12, 2, v20
	v_mov_b32_e32 v13, v9
	v_sub_u32_e32 v14, v20, v25
	v_mov_b32_e32 v15, v9
	v_lshl_add_u64 v[12:13], v[18:19], 0, v[12:13]
	v_lshl_add_u64 v[14:15], v[14:15], 2, v[16:17]
	v_cmp_lt_i32_e32 vcc, v20, v25
	v_add_u32_e32 v22, 0xa00, v24
	v_mov_b32_e32 v23, v9
	v_cndmask_b32_e32 v13, v15, v13, vcc
	v_cndmask_b32_e32 v12, v14, v12, vcc
	global_load_dword v12, v[12:13], off
	v_add_u32_e32 v13, 0x900, v24
	v_sub_u32_e32 v20, v13, v25
	v_lshl_add_u64 v[14:15], v[0:1], 0, s[0:1]
	v_lshl_add_u64 v[20:21], v[20:21], 2, v[16:17]
	v_cmp_lt_i32_e32 vcc, v13, v25
	s_mov_b64 s[0:1], 0x2800
	v_add_u32_e32 v27, 0xe00, v24
	v_cndmask_b32_e32 v15, v21, v15, vcc
	v_cndmask_b32_e32 v14, v20, v14, vcc
	v_sub_u32_e32 v20, v22, v25
	v_mov_b32_e32 v21, v9
	global_load_dword v13, v[14:15], off
	v_lshl_add_u64 v[14:15], v[0:1], 0, s[0:1]
	v_lshl_add_u64 v[20:21], v[20:21], 2, v[16:17]
	v_cmp_lt_i32_e32 vcc, v22, v25
	s_mov_b64 s[0:1], 0x2c00
	s_nop 0
	v_cndmask_b32_e32 v15, v21, v15, vcc
	v_cndmask_b32_e32 v14, v20, v14, vcc
	global_load_dword v14, v[14:15], off
	v_add_u32_e32 v15, 0xb00, v24
	v_sub_u32_e32 v22, v15, v25
	v_lshl_add_u64 v[20:21], v[0:1], 0, s[0:1]
	v_lshl_add_u64 v[22:23], v[22:23], 2, v[16:17]
	v_cmp_lt_i32_e32 vcc, v15, v25
	s_mov_b64 s[0:1], 0x3400
	s_nop 0
	v_cndmask_b32_e32 v21, v23, v21, vcc
	v_cndmask_b32_e32 v20, v22, v20, vcc
	v_or_b32_e32 v22, 0xc00, v24
	global_load_dword v15, v[20:21], off
	v_lshlrev_b32_e32 v20, 2, v22
	v_mov_b32_e32 v21, v9
	v_lshl_add_u64 v[18:19], v[18:19], 0, v[20:21]
	v_sub_u32_e32 v20, v22, v25
	v_lshl_add_u64 v[20:21], v[20:21], 2, v[16:17]
	v_cmp_lt_i32_e32 vcc, v22, v25
	v_mov_b32_e32 v23, v9
	s_nop 0
	v_cndmask_b32_e32 v19, v21, v19, vcc
	v_cndmask_b32_e32 v18, v20, v18, vcc
	global_load_dword v18, v[18:19], off
	v_add_u32_e32 v19, 0xd00, v24
	v_sub_u32_e32 v22, v19, v25
	v_lshl_add_u64 v[20:21], v[0:1], 0, s[0:1]
	v_lshl_add_u64 v[22:23], v[22:23], 2, v[16:17]
	v_cmp_lt_i32_e32 vcc, v19, v25
	s_mov_b64 s[0:1], 0x3800
	s_nop 0
	v_cndmask_b32_e32 v21, v23, v21, vcc
	v_cndmask_b32_e32 v20, v22, v20, vcc
	v_sub_u32_e32 v22, v27, v25
	v_mov_b32_e32 v23, v9
	global_load_dword v19, v[20:21], off
	v_lshl_add_u64 v[20:21], v[0:1], 0, s[0:1]
	v_lshl_add_u64 v[22:23], v[22:23], 2, v[16:17]
	v_cmp_lt_i32_e32 vcc, v27, v25
	s_nop 1
	v_cndmask_b32_e32 v21, v23, v21, vcc
	v_cndmask_b32_e32 v20, v22, v20, vcc
	global_load_dword v21, v[20:21], off
	v_add_u32_e32 v22, 0xf00, v24
	v_add_u32_e32 v20, v26, v25
	v_cmp_lt_i32_e32 vcc, v22, v20
	s_and_saveexec_b64 s[0:1], vcc
	s_cbranch_execz .LBB29_208
; %bb.207:
	s_mov_b64 s[2:3], 0x3c00
	v_sub_u32_e32 v28, v22, v25
	v_mov_b32_e32 v29, 0
	v_lshl_add_u64 v[0:1], v[0:1], 0, s[2:3]
	v_lshl_add_u64 v[16:17], v[28:29], 2, v[16:17]
	v_cmp_lt_i32_e32 vcc, v22, v25
	s_nop 1
	v_cndmask_b32_e32 v1, v17, v1, vcc
	v_cndmask_b32_e32 v0, v16, v0, vcc
	global_load_dword v9, v[0:1], off
.LBB29_208:
	s_or_b64 exec, exec, s[0:1]
	v_lshlrev_b32_e32 v0, 4, v24
	v_min_i32_e32 v1, v20, v0
	v_sub_u32_e32 v0, v1, v26
	s_waitcnt vmcnt(13)
	ds_write2st64_b32 v8, v2, v3 offset0:4 offset1:8
	s_waitcnt vmcnt(11)
	ds_write2st64_b32 v8, v4, v5 offset0:12 offset1:16
	;; [unrolled: 2-line block ×8, first 2 shown]
	v_max_i32_e32 v0, 0, v0
	v_min_i32_e32 v3, v25, v1
	v_lshlrev_b32_e32 v2, 2, v25
	v_cmp_lt_i32_e32 vcc, v0, v3
	s_waitcnt lgkmcnt(0)
	s_barrier
	s_and_saveexec_b64 s[0:1], vcc
	s_cbranch_execz .LBB29_212
; %bb.209:
	v_lshl_add_u32 v4, v1, 2, v2
	v_add_u32_e32 v4, 0x400, v4
	s_mov_b64 s[2:3], 0
.LBB29_210:                             ; =>This Inner Loop Header: Depth=1
	v_add_u32_e32 v5, v3, v0
	v_lshrrev_b32_e32 v5, 1, v5
	v_not_b32_e32 v7, v5
	v_lshlrev_b32_e32 v6, 2, v5
	v_lshl_add_u32 v7, v7, 2, v4
	ds_read_b32 v6, v6 offset:1024
	ds_read_b32 v7, v7
	v_add_u32_e32 v9, 1, v5
	s_waitcnt lgkmcnt(0)
	v_cmp_lt_i32_e32 vcc, v7, v6
	s_nop 1
	v_cndmask_b32_e32 v3, v3, v5, vcc
	v_cndmask_b32_e32 v0, v9, v0, vcc
	v_cmp_ge_i32_e32 vcc, v0, v3
	s_or_b64 s[2:3], vcc, s[2:3]
	s_andn2_b64 exec, exec, s[2:3]
	s_cbranch_execnz .LBB29_210
; %bb.211:
	s_or_b64 exec, exec, s[2:3]
.LBB29_212:
	s_or_b64 exec, exec, s[0:1]
	v_sub_u32_e32 v6, v1, v0
	v_cmp_lt_i32_e32 vcc, v6, v26
	v_mov_b32_e32 v4, 0
	s_and_saveexec_b64 s[2:3], vcc
	s_cbranch_execz .LBB29_247
; %bb.213:
	v_lshl_add_u32 v4, v6, 2, v2
	ds_read_b32 v5, v4 offset:1024
	v_mov_b32_e32 v3, 0
	v_cmp_lt_i32_e32 vcc, 0, v0
	v_mov_b32_e32 v7, 0
	s_and_saveexec_b64 s[0:1], vcc
	s_cbranch_execnz .LBB29_223
; %bb.214:
	s_or_b64 exec, exec, s[0:1]
	v_cmp_lt_i32_e32 vcc, v3, v7
	s_and_saveexec_b64 s[0:1], vcc
	s_cbranch_execnz .LBB29_224
.LBB29_215:
	s_or_b64 exec, exec, s[0:1]
	v_cmp_lt_i32_e32 vcc, v3, v7
	s_and_saveexec_b64 s[0:1], vcc
	s_cbranch_execnz .LBB29_225
.LBB29_216:
	s_or_b64 exec, exec, s[0:1]
	v_cmp_lt_i32_e32 vcc, v3, v7
	s_and_saveexec_b64 s[0:1], vcc
	s_cbranch_execnz .LBB29_226
.LBB29_217:
	s_or_b64 exec, exec, s[0:1]
	v_cmp_lt_i32_e32 vcc, v3, v7
	s_and_saveexec_b64 s[0:1], vcc
	s_cbranch_execnz .LBB29_227
	s_branch .LBB29_230
.LBB29_218:
	v_lshlrev_b32_e32 v5, 2, v4
	v_add_u32_e32 v4, 1, v4
	ds_write_b32 v5, v29 offset:19456
	s_or_b64 exec, exec, s[18:19]
	s_and_saveexec_b64 s[18:19], s[16:17]
	s_cbranch_execz .LBB29_178
.LBB29_219:
	v_lshlrev_b32_e32 v5, 2, v4
	v_add_u32_e32 v4, 1, v4
	ds_write_b32 v5, v28 offset:19456
	s_or_b64 exec, exec, s[18:19]
	s_and_saveexec_b64 s[16:17], s[8:9]
	s_cbranch_execz .LBB29_179
.LBB29_220:
	v_lshlrev_b32_e32 v5, 2, v4
	v_add_u32_e32 v4, 1, v4
	ds_write_b32 v5, v30 offset:19456
	s_or_b64 exec, exec, s[16:17]
	s_and_saveexec_b64 s[8:9], s[6:7]
	s_cbranch_execz .LBB29_180
.LBB29_221:
	v_lshlrev_b32_e32 v5, 2, v4
	v_add_u32_e32 v4, 1, v4
	ds_write_b32 v5, v31 offset:19456
	s_or_b64 exec, exec, s[8:9]
	s_and_saveexec_b64 s[6:7], s[4:5]
	s_cbranch_execz .LBB29_181
.LBB29_222:
	v_lshlrev_b32_e32 v5, 2, v4
	v_add_u32_e32 v4, 1, v4
	ds_write_b32 v5, v32 offset:19456
	s_or_b64 exec, exec, s[6:7]
	s_and_saveexec_b64 s[4:5], s[2:3]
	s_cbranch_execnz .LBB29_182
	s_branch .LBB29_183
.LBB29_223:
	s_movk_i32 s4, 0x1ff
	v_mul_lo_u32 v3, v0, s4
	v_ashrrev_i32_e32 v7, 9, v3
	v_lshlrev_b32_e32 v3, 2, v7
	ds_read_b32 v3, v3 offset:1024
	v_add_u32_e32 v9, 1, v7
	s_waitcnt lgkmcnt(0)
	v_cmp_lt_i32_e32 vcc, v3, v5
	s_nop 1
	v_cndmask_b32_e32 v3, 0, v9, vcc
	v_cndmask_b32_e32 v7, v7, v0, vcc
	s_or_b64 exec, exec, s[0:1]
	v_cmp_lt_i32_e32 vcc, v3, v7
	s_and_saveexec_b64 s[0:1], vcc
	s_cbranch_execz .LBB29_215
.LBB29_224:
	v_sub_u32_e32 v9, v3, v7
	v_lshl_add_u32 v9, v7, 7, v9
	v_ashrrev_i32_e32 v9, 7, v9
	v_lshlrev_b32_e32 v10, 2, v9
	ds_read_b32 v10, v10 offset:1024
	v_add_u32_e32 v11, 1, v9
	s_waitcnt lgkmcnt(0)
	v_cmp_lt_i32_e32 vcc, v10, v5
	s_nop 1
	v_cndmask_b32_e32 v3, v3, v11, vcc
	v_cndmask_b32_e32 v7, v9, v7, vcc
	s_or_b64 exec, exec, s[0:1]
	v_cmp_lt_i32_e32 vcc, v3, v7
	s_and_saveexec_b64 s[0:1], vcc
	s_cbranch_execz .LBB29_216
.LBB29_225:
	v_sub_u32_e32 v9, v3, v7
	v_lshl_add_u32 v9, v7, 5, v9
	v_ashrrev_i32_e32 v9, 5, v9
	v_lshlrev_b32_e32 v10, 2, v9
	ds_read_b32 v10, v10 offset:1024
	v_add_u32_e32 v11, 1, v9
	s_waitcnt lgkmcnt(0)
	v_cmp_lt_i32_e32 vcc, v10, v5
	s_nop 1
	v_cndmask_b32_e32 v3, v3, v11, vcc
	v_cndmask_b32_e32 v7, v9, v7, vcc
	s_or_b64 exec, exec, s[0:1]
	v_cmp_lt_i32_e32 vcc, v3, v7
	s_and_saveexec_b64 s[0:1], vcc
	s_cbranch_execz .LBB29_217
.LBB29_226:
	v_sub_u32_e32 v9, v3, v7
	v_lshl_add_u32 v9, v7, 4, v9
	v_ashrrev_i32_e32 v9, 4, v9
	v_lshlrev_b32_e32 v10, 2, v9
	ds_read_b32 v10, v10 offset:1024
	v_add_u32_e32 v11, 1, v9
	s_waitcnt lgkmcnt(0)
	v_cmp_lt_i32_e32 vcc, v10, v5
	s_nop 1
	v_cndmask_b32_e32 v3, v3, v11, vcc
	v_cndmask_b32_e32 v7, v9, v7, vcc
	s_or_b64 exec, exec, s[0:1]
	v_cmp_lt_i32_e32 vcc, v3, v7
	s_and_saveexec_b64 s[0:1], vcc
	s_cbranch_execz .LBB29_230
.LBB29_227:
	s_mov_b64 s[4:5], 0
.LBB29_228:                             ; =>This Inner Loop Header: Depth=1
	v_sub_u32_e32 v9, v3, v7
	v_lshl_add_u32 v9, v7, 1, v9
	v_ashrrev_i32_e32 v9, 1, v9
	v_lshlrev_b32_e32 v10, 2, v9
	ds_read_b32 v10, v10 offset:1024
	v_add_u32_e32 v11, 1, v9
	s_waitcnt lgkmcnt(0)
	v_cmp_lt_i32_e32 vcc, v10, v5
	s_nop 1
	v_cndmask_b32_e32 v3, v3, v11, vcc
	v_cndmask_b32_e32 v7, v9, v7, vcc
	v_cmp_ge_i32_e32 vcc, v3, v7
	s_or_b64 s[4:5], vcc, s[4:5]
	s_andn2_b64 exec, exec, s[4:5]
	s_cbranch_execnz .LBB29_228
; %bb.229:
	s_or_b64 exec, exec, s[4:5]
.LBB29_230:
	s_or_b64 exec, exec, s[0:1]
	v_mov_b32_e32 v7, 0
	v_cmp_lt_i32_e32 vcc, 0, v6
	v_mov_b32_e32 v9, v6
	s_and_saveexec_b64 s[0:1], vcc
	s_cbranch_execnz .LBB29_235
; %bb.231:
	s_or_b64 exec, exec, s[0:1]
	v_cmp_lt_i32_e32 vcc, v7, v9
	s_and_saveexec_b64 s[0:1], vcc
	s_cbranch_execnz .LBB29_236
.LBB29_232:
	s_or_b64 exec, exec, s[0:1]
	v_cmp_lt_i32_e32 vcc, v7, v9
	s_and_saveexec_b64 s[0:1], vcc
	s_cbranch_execnz .LBB29_237
.LBB29_233:
	s_or_b64 exec, exec, s[0:1]
	v_cmp_lt_i32_e32 vcc, v7, v9
	s_and_saveexec_b64 s[0:1], vcc
	s_cbranch_execnz .LBB29_238
.LBB29_234:
	s_or_b64 exec, exec, s[0:1]
	v_cmp_lt_i32_e32 vcc, v7, v9
	s_and_saveexec_b64 s[0:1], vcc
	s_cbranch_execnz .LBB29_239
	s_branch .LBB29_242
.LBB29_235:
	s_movk_i32 s4, 0x1ff
	v_mul_lo_u32 v7, v6, s4
	v_lshrrev_b32_e32 v9, 9, v7
	v_lshl_add_u32 v7, v9, 2, v2
	ds_read_b32 v7, v7 offset:1024
	v_add_u32_e32 v10, 1, v9
	s_waitcnt lgkmcnt(0)
	v_cmp_lt_i32_e32 vcc, v7, v5
	s_nop 1
	v_cndmask_b32_e32 v7, 0, v10, vcc
	v_cndmask_b32_e32 v9, v9, v6, vcc
	s_or_b64 exec, exec, s[0:1]
	v_cmp_lt_i32_e32 vcc, v7, v9
	s_and_saveexec_b64 s[0:1], vcc
	s_cbranch_execz .LBB29_232
.LBB29_236:
	v_sub_u32_e32 v10, v7, v9
	v_lshl_add_u32 v10, v9, 7, v10
	v_ashrrev_i32_e32 v10, 7, v10
	v_lshl_add_u32 v11, v10, 2, v2
	ds_read_b32 v11, v11 offset:1024
	v_add_u32_e32 v12, 1, v10
	s_waitcnt lgkmcnt(0)
	v_cmp_lt_i32_e32 vcc, v11, v5
	s_nop 1
	v_cndmask_b32_e32 v7, v7, v12, vcc
	v_cndmask_b32_e32 v9, v10, v9, vcc
	s_or_b64 exec, exec, s[0:1]
	v_cmp_lt_i32_e32 vcc, v7, v9
	s_and_saveexec_b64 s[0:1], vcc
	s_cbranch_execz .LBB29_233
.LBB29_237:
	v_sub_u32_e32 v10, v7, v9
	v_lshl_add_u32 v10, v9, 5, v10
	v_ashrrev_i32_e32 v10, 5, v10
	v_lshl_add_u32 v11, v10, 2, v2
	ds_read_b32 v11, v11 offset:1024
	v_add_u32_e32 v12, 1, v10
	s_waitcnt lgkmcnt(0)
	v_cmp_lt_i32_e32 vcc, v11, v5
	s_nop 1
	v_cndmask_b32_e32 v7, v7, v12, vcc
	v_cndmask_b32_e32 v9, v10, v9, vcc
	s_or_b64 exec, exec, s[0:1]
	v_cmp_lt_i32_e32 vcc, v7, v9
	s_and_saveexec_b64 s[0:1], vcc
	s_cbranch_execz .LBB29_234
.LBB29_238:
	v_sub_u32_e32 v10, v7, v9
	v_lshl_add_u32 v10, v9, 4, v10
	v_ashrrev_i32_e32 v10, 4, v10
	v_lshl_add_u32 v11, v10, 2, v2
	ds_read_b32 v11, v11 offset:1024
	v_add_u32_e32 v12, 1, v10
	s_waitcnt lgkmcnt(0)
	v_cmp_lt_i32_e32 vcc, v11, v5
	s_nop 1
	v_cndmask_b32_e32 v7, v7, v12, vcc
	v_cndmask_b32_e32 v9, v10, v9, vcc
	s_or_b64 exec, exec, s[0:1]
	v_cmp_lt_i32_e32 vcc, v7, v9
	s_and_saveexec_b64 s[0:1], vcc
	s_cbranch_execz .LBB29_242
.LBB29_239:
	s_mov_b64 s[4:5], 0
.LBB29_240:                             ; =>This Inner Loop Header: Depth=1
	v_sub_u32_e32 v10, v7, v9
	v_lshl_add_u32 v10, v9, 1, v10
	v_ashrrev_i32_e32 v10, 1, v10
	v_lshl_add_u32 v11, v10, 2, v2
	ds_read_b32 v11, v11 offset:1024
	v_add_u32_e32 v12, 1, v10
	s_waitcnt lgkmcnt(0)
	v_cmp_lt_i32_e32 vcc, v11, v5
	s_nop 1
	v_cndmask_b32_e32 v7, v7, v12, vcc
	v_cndmask_b32_e32 v9, v10, v9, vcc
	v_cmp_ge_i32_e32 vcc, v7, v9
	s_or_b64 s[4:5], vcc, s[4:5]
	s_andn2_b64 exec, exec, s[4:5]
	s_cbranch_execnz .LBB29_240
; %bb.241:
	s_or_b64 exec, exec, s[4:5]
.LBB29_242:
	s_or_b64 exec, exec, s[0:1]
	v_sub_u32_e32 v0, v0, v3
	v_sub_u32_e32 v10, v6, v7
	v_add_u32_e32 v9, v10, v0
	v_ashrrev_i32_e32 v0, 1, v9
	v_max_i32_e32 v0, v0, v10
	v_add3_u32 v7, v7, v0, 1
	v_min_i32_e32 v7, v7, v26
	v_sub_u32_e32 v7, v7, v6
	v_mov_b32_e32 v6, 0
	v_cmp_lt_i32_e32 vcc, 0, v7
	s_and_saveexec_b64 s[0:1], vcc
	s_cbranch_execz .LBB29_246
; %bb.243:
	v_mov_b32_e32 v6, 0
	s_mov_b64 s[4:5], 0
.LBB29_244:                             ; =>This Inner Loop Header: Depth=1
	v_add_u32_e32 v11, v6, v7
	v_lshrrev_b32_e32 v11, 1, v11
	v_lshl_add_u32 v12, v11, 2, v4
	ds_read_b32 v12, v12 offset:1024
	v_add_u32_e32 v13, 1, v11
	s_waitcnt lgkmcnt(0)
	v_cmp_lt_i32_e32 vcc, v5, v12
	s_nop 1
	v_cndmask_b32_e32 v6, v13, v6, vcc
	v_cndmask_b32_e32 v7, v7, v11, vcc
	v_cmp_ge_i32_e32 vcc, v6, v7
	s_or_b64 s[4:5], vcc, s[4:5]
	s_andn2_b64 exec, exec, s[4:5]
	s_cbranch_execnz .LBB29_244
; %bb.245:
	s_or_b64 exec, exec, s[4:5]
.LBB29_246:
	s_or_b64 exec, exec, s[0:1]
	v_add_u32_e32 v4, v6, v10
	s_waitcnt lgkmcnt(0)
	v_min_i32_e32 v5, v4, v0
	v_sub_u32_e32 v6, v9, v5
	v_add_u32_e32 v5, 1, v5
	v_cmp_eq_u32_e32 vcc, v6, v5
	v_cmp_lt_i32_e64 s[0:1], v0, v4
	s_and_b64 s[0:1], s[0:1], vcc
	v_add_u32_e32 v0, v6, v3
	v_cndmask_b32_e64 v4, 0, 1, s[0:1]
.LBB29_247:
	s_or_b64 exec, exec, s[2:3]
	v_add_u32_e32 v1, v4, v1
	v_sub_u32_e32 v1, v1, v0
	v_lshlrev_b32_e32 v3, 16, v25
	v_or_b32_e32 v3, v3, v26
	v_lshl_or_b32 v4, v0, 16, v1
	v_subrev_co_u32_e64 v5, s[0:1], 1, v24
	v_lshl_add_u32 v7, v1, 2, v2
	s_nop 0
	v_cndmask_b32_e64 v3, v4, v3, s[0:1]
	v_mov_b32_e32 v4, 0xff
	v_cndmask_b32_e64 v4, v5, v4, s[0:1]
	v_lshlrev_b32_e32 v4, 2, v4
	v_lshlrev_b32_e32 v5, 2, v0
	ds_write_b32 v4, v3
	s_waitcnt lgkmcnt(0)
	s_barrier
	ds_read_b32 v22, v5 offset:1024
	ds_read_b32 v3, v7 offset:1024
	ds_read_b32 v2, v8
	v_mov_b32_e32 v4, v0
	s_waitcnt lgkmcnt(2)
	v_mov_b32_e32 v9, v22
	s_waitcnt lgkmcnt(1)
	v_cmp_ge_i32_e32 vcc, v3, v22
	s_and_saveexec_b64 s[2:3], vcc
; %bb.248:
	ds_read_b32 v9, v5 offset:1028
	v_add_u32_e32 v4, 1, v0
; %bb.249:
	s_or_b64 exec, exec, s[2:3]
	v_add_u32_e32 v5, v1, v25
	v_cmp_ge_i32_e32 vcc, v22, v3
	v_mov_b32_e32 v6, v3
	s_and_saveexec_b64 s[2:3], vcc
; %bb.250:
	ds_read_b32 v6, v7 offset:1028
	v_add_u32_e32 v5, 1, v5
; %bb.251:
	s_or_b64 exec, exec, s[2:3]
	s_waitcnt lgkmcnt(0)
	v_cmp_ge_i32_e32 vcc, v6, v9
	v_mov_b32_e32 v23, v9
	v_mov_b32_e32 v7, v4
	s_and_saveexec_b64 s[2:3], vcc
; %bb.252:
	v_lshlrev_b32_e32 v7, 2, v4
	ds_read_b32 v23, v7 offset:1028
	v_add_u32_e32 v7, 1, v4
; %bb.253:
	s_or_b64 exec, exec, s[2:3]
	v_cmp_ge_i32_e32 vcc, v9, v6
	v_mov_b32_e32 v10, v6
	v_mov_b32_e32 v11, v5
	s_and_saveexec_b64 s[2:3], vcc
; %bb.254:
	v_lshlrev_b32_e32 v10, 2, v5
	ds_read_b32 v10, v10 offset:1028
	v_add_u32_e32 v11, 1, v5
; %bb.255:
	s_or_b64 exec, exec, s[2:3]
	s_waitcnt lgkmcnt(0)
	v_cmp_ge_i32_e32 vcc, v10, v23
	v_mov_b32_e32 v26, v23
	v_mov_b32_e32 v12, v7
	s_and_saveexec_b64 s[2:3], vcc
; %bb.256:
	v_lshlrev_b32_e32 v12, 2, v7
	ds_read_b32 v26, v12 offset:1028
	v_add_u32_e32 v12, 1, v7
; %bb.257:
	s_or_b64 exec, exec, s[2:3]
	v_cmp_ge_i32_e32 vcc, v23, v10
	v_mov_b32_e32 v13, v10
	v_mov_b32_e32 v14, v11
	s_and_saveexec_b64 s[2:3], vcc
; %bb.258:
	v_lshlrev_b32_e32 v13, 2, v11
	;; [unrolled: 21-line block ×14, first 2 shown]
	ds_read_b32 v67, v66 offset:1028
	v_add_u32_e32 v66, 1, v64
; %bb.307:
	s_or_b64 exec, exec, s[2:3]
	v_add_u32_sdwa v25, v2, v25 dst_sel:DWORD dst_unused:UNUSED_PAD src0_sel:WORD_0 src1_sel:DWORD
	v_cmp_ge_i32_sdwa s[4:5], v65, sext(v2) src0_sel:DWORD src1_sel:WORD_1
	v_cmp_ge_i32_e64 s[2:3], v66, v25
	s_waitcnt lgkmcnt(0)
	v_cmp_ne_u32_e32 vcc, v67, v38
	s_or_b64 s[2:3], s[4:5], s[2:3]
	v_mov_b32_e32 v65, 0x8000
	s_or_b64 s[2:3], vcc, s[2:3]
	v_cndmask_b32_e64 v65, v65, 0, s[2:3]
	v_cmp_ge_i32_sdwa s[4:5], v62, sext(v2) src0_sel:DWORD src1_sel:WORD_1
	v_cmp_ge_i32_e64 s[2:3], v64, v25
	v_cmp_ne_u32_e32 vcc, v63, v37
	s_or_b64 s[2:3], s[4:5], s[2:3]
	v_mov_b32_e32 v62, 0x4000
	s_or_b64 s[2:3], vcc, s[2:3]
	v_cndmask_b32_e64 v62, v62, 0, s[2:3]
	v_cmp_ge_i32_sdwa s[4:5], v59, sext(v2) src0_sel:DWORD src1_sel:WORD_1
	v_cmp_ge_i32_e64 s[2:3], v61, v25
	;; [unrolled: 7-line block ×9, first 2 shown]
	v_cmp_ne_u32_e32 vcc, v39, v29
	s_or_b64 s[2:3], s[4:5], s[2:3]
	s_or_b64 s[2:3], vcc, s[2:3]
	v_cndmask_b32_e64 v21, 64, 0, s[2:3]
	v_cmp_ge_i32_sdwa s[4:5], v18, sext(v2) src0_sel:DWORD src1_sel:WORD_1
	v_cmp_ge_i32_e64 s[2:3], v20, v25
	v_cmp_ne_u32_e32 vcc, v19, v28
	s_or_b64 s[2:3], s[4:5], s[2:3]
	s_or_b64 s[8:9], vcc, s[2:3]
	v_cmp_ge_i32_sdwa s[6:7], v15, sext(v2) src0_sel:DWORD src1_sel:WORD_1
	v_cmp_ge_i32_e64 s[2:3], v17, v25
	v_cmp_ne_u32_e32 vcc, v16, v27
	s_or_b64 s[2:3], s[6:7], s[2:3]
	s_or_b64 s[10:11], vcc, s[2:3]
	;; [unrolled: 5-line block ×5, first 2 shown]
	v_cmp_gt_i32_sdwa s[2:3], sext(v2), v0 src0_sel:WORD_1 src1_sel:DWORD
	v_cmp_gt_i32_sdwa s[6:7], v2, v1 src0_sel:WORD_0 src1_sel:DWORD
	v_cmp_eq_u32_e32 vcc, v3, v22
	s_and_b64 s[2:3], s[2:3], s[6:7]
	s_and_b64 s[20:21], s[2:3], vcc
	v_cndmask_b32_e64 v7, 4, 0, s[18:19]
	v_cndmask_b32_e64 v4, 2, 0, s[22:23]
	v_cndmask_b32_e64 v0, 0, 1, s[20:21]
	v_cndmask_b32_e64 v15, 16, 0, s[10:11]
	v_cndmask_b32_e64 v12, 8, 0, s[16:17]
	v_or3_b32 v0, v4, v0, v7
	v_cndmask_b32_e64 v18, 32, 0, s[8:9]
	v_or3_b32 v0, v0, v12, v15
	v_or3_b32 v43, v0, v18, v21
	v_or_b32_e32 v42, v41, v43
	v_or3_b32 v41, v44, v47, v42
	v_or3_b32 v40, v50, v53, v41
	;; [unrolled: 1-line block ×4, first 2 shown]
	s_mov_b64 s[4:5], -1
	v_bcnt_u32_b32 v10, v25, 0
	v_mov_b32_e32 v11, 0
	s_cmp_lg_u32 s14, 0
	v_mbcnt_lo_u32_b32 v44, -1, 0
	s_barrier
	s_cbranch_scc0 .LBB29_335
; %bb.308:
	v_mbcnt_hi_u32_b32 v20, -1, v44
	v_mov_b32_dpp v0, v10 row_shr:1 row_mask:0xf bank_mask:0xf
	v_mov_b32_e32 v1, v11
	v_and_b32_e32 v4, 15, v20
	v_mov_b32_dpp v3, v11 row_shr:1 row_mask:0xf bank_mask:0xf
	v_mov_b32_e32 v2, v11
	v_lshl_add_u64 v[0:1], v[0:1], 0, v[10:11]
	v_lshl_add_u64 v[2:3], v[2:3], 0, v[0:1]
	v_cmp_eq_u32_e32 vcc, 0, v4
	v_and_b32_e32 v7, 16, v20
	v_cmp_eq_u32_e64 s[2:3], 0, v20
	v_cndmask_b32_e64 v1, v3, 0, vcc
	v_cndmask_b32_e32 v5, v0, v10, vcc
	v_cndmask_b32_e32 v0, v2, v10, vcc
	v_mov_b32_dpp v3, v1 row_shr:2 row_mask:0xf bank_mask:0xf
	v_mov_b32_dpp v2, v5 row_shr:2 row_mask:0xf bank_mask:0xf
	v_lshl_add_u64 v[2:3], v[2:3], 0, v[0:1]
	v_cmp_lt_u32_e32 vcc, 1, v4
	v_cmp_ne_u32_e64 s[4:5], 0, v20
	s_nop 0
	v_cndmask_b32_e32 v1, v1, v3, vcc
	v_cndmask_b32_e32 v5, v5, v2, vcc
	;; [unrolled: 1-line block ×3, first 2 shown]
	v_mov_b32_dpp v3, v1 row_shr:4 row_mask:0xf bank_mask:0xf
	v_mov_b32_dpp v2, v5 row_shr:4 row_mask:0xf bank_mask:0xf
	v_lshl_add_u64 v[2:3], v[2:3], 0, v[0:1]
	v_cmp_lt_u32_e32 vcc, 3, v4
	s_nop 1
	v_cndmask_b32_e32 v1, v1, v3, vcc
	v_cndmask_b32_e32 v5, v5, v2, vcc
	;; [unrolled: 1-line block ×3, first 2 shown]
	v_mov_b32_dpp v3, v1 row_shr:8 row_mask:0xf bank_mask:0xf
	v_mov_b32_dpp v2, v5 row_shr:8 row_mask:0xf bank_mask:0xf
	v_lshl_add_u64 v[2:3], v[2:3], 0, v[0:1]
	v_cmp_lt_u32_e32 vcc, 7, v4
	s_nop 1
	v_cndmask_b32_e32 v3, v1, v3, vcc
	v_cndmask_b32_e32 v6, v5, v2, vcc
	;; [unrolled: 1-line block ×3, first 2 shown]
	v_mov_b32_dpp v1, v3 row_bcast:15 row_mask:0xf bank_mask:0xf
	v_mov_b32_dpp v0, v6 row_bcast:15 row_mask:0xf bank_mask:0xf
	v_lshl_add_u64 v[4:5], v[0:1], 0, v[2:3]
	v_cmp_eq_u32_e32 vcc, 0, v7
	s_nop 1
	v_cndmask_b32_e32 v0, v5, v3, vcc
	v_cndmask_b32_e32 v1, v4, v6, vcc
	s_nop 0
	v_mov_b32_dpp v7, v0 row_bcast:31 row_mask:0xf bank_mask:0xf
	v_mov_b32_dpp v6, v1 row_bcast:31 row_mask:0xf bank_mask:0xf
	v_mov_b64_e32 v[0:1], v[10:11]
	s_and_saveexec_b64 s[6:7], s[4:5]
; %bb.309:
	v_cndmask_b32_e32 v1, v5, v3, vcc
	v_cndmask_b32_e32 v0, v4, v2, vcc
	v_cmp_lt_u32_e32 vcc, 31, v20
	s_nop 1
	v_cndmask_b32_e32 v3, 0, v7, vcc
	v_cndmask_b32_e32 v2, 0, v6, vcc
	v_lshl_add_u64 v[0:1], v[2:3], 0, v[0:1]
; %bb.310:
	s_or_b64 exec, exec, s[6:7]
	v_and_b32_e32 v3, 0x3c0, v24
	v_min_u32_e32 v3, 0xc0, v3
	v_or_b32_e32 v3, 63, v3
	v_lshrrev_b32_e32 v2, 6, v24
	v_cmp_eq_u32_e32 vcc, v24, v3
	s_and_saveexec_b64 s[4:5], vcc
; %bb.311:
	v_lshlrev_b32_e32 v3, 3, v2
	ds_write_b64 v3, v[0:1]
; %bb.312:
	s_or_b64 exec, exec, s[4:5]
	v_cmp_gt_u32_e32 vcc, 4, v24
	s_waitcnt lgkmcnt(0)
	s_barrier
	s_and_saveexec_b64 s[6:7], vcc
	s_cbranch_execz .LBB29_314
; %bb.313:
	v_lshlrev_b32_e32 v3, 3, v24
	ds_read_b64 v[4:5], v3
	v_mov_b32_e32 v6, 0
	v_mov_b32_e32 v13, v6
	v_and_b32_e32 v14, 3, v20
	v_cmp_eq_u32_e32 vcc, 0, v14
	s_waitcnt lgkmcnt(0)
	v_mov_b32_dpp v12, v4 row_shr:1 row_mask:0xf bank_mask:0xf
	v_mov_b32_dpp v7, v5 row_shr:1 row_mask:0xf bank_mask:0xf
	v_lshl_add_u64 v[12:13], v[4:5], 0, v[12:13]
	v_lshl_add_u64 v[6:7], v[6:7], 0, v[12:13]
	v_cndmask_b32_e32 v13, v7, v5, vcc
	v_cndmask_b32_e32 v12, v12, v4, vcc
	v_cmp_ne_u32_e64 s[4:5], 1, v14
	v_mov_b32_dpp v13, v13 row_shr:2 row_mask:0xf bank_mask:0xf
	v_mov_b32_dpp v12, v12 row_shr:2 row_mask:0xf bank_mask:0xf
	v_cndmask_b32_e64 v12, 0, v12, s[4:5]
	v_cndmask_b32_e64 v13, 0, v13, s[4:5]
	v_lshl_add_u64 v[6:7], v[12:13], 0, v[6:7]
	v_cndmask_b32_e32 v5, v7, v5, vcc
	v_cndmask_b32_e32 v4, v6, v4, vcc
	ds_write_b64 v3, v[4:5]
.LBB29_314:
	s_or_b64 exec, exec, s[6:7]
	v_cmp_gt_u32_e32 vcc, 64, v24
	v_cmp_lt_u32_e64 s[4:5], 63, v24
	s_waitcnt lgkmcnt(0)
	s_barrier
                                        ; implicit-def: $vgpr12_vgpr13
	s_and_saveexec_b64 s[6:7], s[4:5]
	s_cbranch_execz .LBB29_316
; %bb.315:
	v_lshl_add_u32 v2, v2, 3, -8
	ds_read_b64 v[12:13], v2
	s_waitcnt lgkmcnt(0)
	v_lshl_add_u64 v[0:1], v[12:13], 0, v[0:1]
.LBB29_316:
	s_or_b64 exec, exec, s[6:7]
	v_add_u32_e32 v1, -1, v20
	v_and_b32_e32 v2, 64, v20
	v_cmp_lt_i32_e64 s[4:5], v1, v2
	s_nop 1
	v_cndmask_b32_e64 v1, v1, v20, s[4:5]
	v_lshlrev_b32_e32 v1, 2, v1
	ds_bpermute_b32 v45, v1, v0
	s_and_saveexec_b64 s[24:25], vcc
	s_cbranch_execz .LBB29_340
; %bb.317:
	v_mov_b32_e32 v3, 0
	ds_read_b64 v[0:1], v3 offset:24
	s_and_saveexec_b64 s[4:5], s[2:3]
	s_cbranch_execz .LBB29_319
; %bb.318:
	s_add_i32 s6, s14, 64
	s_mov_b32 s7, 0
	s_lshl_b64 s[6:7], s[6:7], 4
	s_add_u32 s6, s12, s6
	s_addc_u32 s7, s13, s7
	v_mov_b32_e32 v2, 1
	v_mov_b64_e32 v[4:5], s[6:7]
	s_waitcnt lgkmcnt(0)
	;;#ASMSTART
	global_store_dwordx4 v[4:5], v[0:3] off sc1	
s_waitcnt vmcnt(0)
	;;#ASMEND
.LBB29_319:
	s_or_b64 exec, exec, s[4:5]
	v_xad_u32 v14, v20, -1, s14
	v_add_u32_e32 v2, 64, v14
	v_lshl_add_u64 v[16:17], v[2:3], 4, s[12:13]
	;;#ASMSTART
	global_load_dwordx4 v[4:7], v[16:17] off sc1	
s_waitcnt vmcnt(0)
	;;#ASMEND
	s_nop 0
	v_cmp_eq_u16_sdwa s[6:7], v6, v3 src0_sel:BYTE_0 src1_sel:DWORD
	s_and_saveexec_b64 s[4:5], s[6:7]
	s_cbranch_execz .LBB29_323
; %bb.320:
	s_mov_b64 s[6:7], 0
	v_mov_b32_e32 v2, 0
.LBB29_321:                             ; =>This Inner Loop Header: Depth=1
	;;#ASMSTART
	global_load_dwordx4 v[4:7], v[16:17] off sc1	
s_waitcnt vmcnt(0)
	;;#ASMEND
	s_nop 0
	v_cmp_ne_u16_sdwa s[26:27], v6, v2 src0_sel:BYTE_0 src1_sel:DWORD
	s_or_b64 s[6:7], s[26:27], s[6:7]
	s_andn2_b64 exec, exec, s[6:7]
	s_cbranch_execnz .LBB29_321
; %bb.322:
	s_or_b64 exec, exec, s[6:7]
.LBB29_323:
	s_or_b64 exec, exec, s[4:5]
	v_mov_b32_e32 v46, 2
	v_cmp_eq_u16_sdwa s[4:5], v6, v46 src0_sel:BYTE_0 src1_sel:DWORD
	v_lshlrev_b64 v[16:17], v20, -1
	v_and_b32_e32 v47, 63, v20
	v_and_b32_e32 v2, s5, v17
	v_or_b32_e32 v2, 0x80000000, v2
	v_and_b32_e32 v3, s4, v16
	v_ffbl_b32_e32 v2, v2
	v_add_u32_e32 v2, 32, v2
	v_ffbl_b32_e32 v3, v3
	v_cmp_ne_u32_e32 vcc, 63, v47
	v_min_u32_e32 v7, v3, v2
	v_mov_b32_e32 v15, 0
	v_addc_co_u32_e32 v2, vcc, 0, v20, vcc
	v_lshlrev_b32_e32 v48, 2, v2
	ds_bpermute_b32 v2, v48, v4
	ds_bpermute_b32 v19, v48, v5
	v_mov_b32_e32 v3, v15
	v_mov_b32_e32 v18, v15
	v_cmp_lt_u32_e64 s[4:5], v47, v7
	s_waitcnt lgkmcnt(1)
	v_lshl_add_u64 v[2:3], v[4:5], 0, v[2:3]
	v_cmp_gt_u32_e32 vcc, 62, v47
	s_waitcnt lgkmcnt(0)
	v_lshl_add_u64 v[18:19], v[18:19], 0, v[2:3]
	v_cndmask_b32_e64 v21, v4, v2, s[4:5]
	v_cndmask_b32_e64 v2, 0, 2, vcc
	v_cndmask_b32_e64 v3, v5, v19, s[4:5]
	v_add_lshl_u32 v49, v2, v20, 2
	ds_bpermute_b32 v52, v49, v21
	ds_bpermute_b32 v53, v49, v3
	v_cndmask_b32_e64 v2, v4, v18, s[4:5]
	v_add_u32_e32 v50, 2, v47
	v_cmp_gt_u32_e32 vcc, v50, v7
	v_cmp_gt_u32_e64 s[6:7], 60, v47
	s_waitcnt lgkmcnt(0)
	v_lshl_add_u64 v[18:19], v[52:53], 0, v[2:3]
	v_cndmask_b32_e32 v3, v19, v3, vcc
	v_cndmask_b32_e64 v19, 0, 4, s[6:7]
	v_cndmask_b32_e32 v21, v18, v21, vcc
	v_add_lshl_u32 v51, v19, v20, 2
	ds_bpermute_b32 v54, v51, v21
	ds_bpermute_b32 v55, v51, v3
	v_cndmask_b32_e32 v2, v18, v2, vcc
	v_add_u32_e32 v52, 4, v47
	v_cmp_gt_u32_e32 vcc, v52, v7
	v_cmp_gt_u32_e64 s[6:7], 56, v47
	s_waitcnt lgkmcnt(0)
	v_lshl_add_u64 v[18:19], v[54:55], 0, v[2:3]
	v_cndmask_b32_e32 v3, v19, v3, vcc
	v_cndmask_b32_e64 v19, 0, 8, s[6:7]
	v_cndmask_b32_e32 v21, v18, v21, vcc
	v_add_lshl_u32 v53, v19, v20, 2
	ds_bpermute_b32 v56, v53, v21
	ds_bpermute_b32 v57, v53, v3
	v_cndmask_b32_e32 v2, v18, v2, vcc
	;; [unrolled: 12-line block ×3, first 2 shown]
	v_add_u32_e32 v56, 16, v47
	v_cmp_gt_u32_e32 vcc, v56, v7
	v_mov_b32_e32 v57, 0x80
	s_waitcnt lgkmcnt(0)
	v_lshl_add_u64 v[18:19], v[58:59], 0, v[2:3]
	v_cndmask_b32_e32 v58, v19, v3, vcc
	v_cndmask_b32_e32 v21, v18, v21, vcc
	v_lshl_or_b32 v57, v20, 2, v57
	ds_bpermute_b32 v20, v57, v21
	ds_bpermute_b32 v21, v57, v58
	v_add_u32_e32 v58, 32, v47
	s_and_saveexec_b64 s[6:7], s[4:5]
	s_cbranch_execz .LBB29_325
; %bb.324:
	v_cndmask_b32_e32 v3, v19, v3, vcc
	v_cndmask_b32_e32 v2, v18, v2, vcc
	v_cmp_le_u32_e32 vcc, v58, v7
	s_waitcnt lgkmcnt(0)
	s_nop 0
	v_cndmask_b32_e32 v5, 0, v21, vcc
	v_cndmask_b32_e32 v4, 0, v20, vcc
	v_lshl_add_u64 v[4:5], v[4:5], 0, v[2:3]
.LBB29_325:
	s_or_b64 exec, exec, s[6:7]
	s_branch .LBB29_328
.LBB29_326:                             ;   in Loop: Header=BB29_328 Depth=1
	s_or_b64 exec, exec, s[6:7]
	v_subrev_u32_e32 v14, 64, v14
	v_lshl_add_u64 v[4:5], v[4:5], 0, v[2:3]
	s_mov_b64 s[4:5], 0
.LBB29_327:                             ;   in Loop: Header=BB29_328 Depth=1
	s_and_b64 vcc, exec, s[4:5]
	s_cbranch_vccnz .LBB29_336
.LBB29_328:                             ; =>This Loop Header: Depth=1
                                        ;     Child Loop BB29_331 Depth 2
	v_cmp_ne_u16_sdwa s[4:5], v6, v46 src0_sel:BYTE_0 src1_sel:DWORD
	v_mov_b64_e32 v[2:3], v[4:5]
	s_cmp_lg_u64 s[4:5], exec
	s_mov_b64 s[4:5], -1
                                        ; implicit-def: $vgpr4_vgpr5
	s_cbranch_scc1 .LBB29_327
; %bb.329:                              ;   in Loop: Header=BB29_328 Depth=1
	v_lshl_add_u64 v[18:19], v[14:15], 4, s[12:13]
	;;#ASMSTART
	global_load_dwordx4 v[4:7], v[18:19] off sc1	
s_waitcnt vmcnt(0)
	;;#ASMEND
	s_nop 0
	v_cmp_eq_u16_sdwa s[6:7], v6, v15 src0_sel:BYTE_0 src1_sel:DWORD
	s_and_saveexec_b64 s[4:5], s[6:7]
	s_cbranch_execz .LBB29_333
; %bb.330:                              ;   in Loop: Header=BB29_328 Depth=1
	s_mov_b64 s[6:7], 0
.LBB29_331:                             ;   Parent Loop BB29_328 Depth=1
                                        ; =>  This Inner Loop Header: Depth=2
	;;#ASMSTART
	global_load_dwordx4 v[4:7], v[18:19] off sc1	
s_waitcnt vmcnt(0)
	;;#ASMEND
	s_nop 0
	v_cmp_ne_u16_sdwa s[26:27], v6, v15 src0_sel:BYTE_0 src1_sel:DWORD
	s_or_b64 s[6:7], s[26:27], s[6:7]
	s_andn2_b64 exec, exec, s[6:7]
	s_cbranch_execnz .LBB29_331
; %bb.332:                              ;   in Loop: Header=BB29_328 Depth=1
	s_or_b64 exec, exec, s[6:7]
.LBB29_333:                             ;   in Loop: Header=BB29_328 Depth=1
	s_or_b64 exec, exec, s[4:5]
	v_cmp_eq_u16_sdwa s[4:5], v6, v46 src0_sel:BYTE_0 src1_sel:DWORD
	s_waitcnt lgkmcnt(0)
	ds_bpermute_b32 v21, v48, v5
	v_mov_b32_e32 v20, v15
	v_and_b32_e32 v18, s4, v16
	v_and_b32_e32 v7, s5, v17
	v_ffbl_b32_e32 v19, v18
	ds_bpermute_b32 v18, v48, v4
	v_or_b32_e32 v7, 0x80000000, v7
	v_ffbl_b32_e32 v7, v7
	v_add_u32_e32 v7, 32, v7
	v_min_u32_e32 v7, v19, v7
	v_mov_b32_e32 v19, v15
	s_waitcnt lgkmcnt(0)
	v_lshl_add_u64 v[18:19], v[4:5], 0, v[18:19]
	v_lshl_add_u64 v[20:21], v[20:21], 0, v[18:19]
	v_cmp_lt_u32_e64 s[4:5], v47, v7
	v_cmp_gt_u32_e32 vcc, v50, v7
	s_nop 0
	v_cndmask_b32_e64 v59, v4, v18, s[4:5]
	v_cndmask_b32_e64 v19, v5, v21, s[4:5]
	ds_bpermute_b32 v60, v49, v59
	ds_bpermute_b32 v61, v49, v19
	v_cndmask_b32_e64 v18, v4, v20, s[4:5]
	s_waitcnt lgkmcnt(0)
	v_lshl_add_u64 v[20:21], v[60:61], 0, v[18:19]
	v_cndmask_b32_e32 v59, v20, v59, vcc
	v_cndmask_b32_e32 v19, v21, v19, vcc
	ds_bpermute_b32 v60, v51, v59
	ds_bpermute_b32 v61, v51, v19
	v_cndmask_b32_e32 v18, v20, v18, vcc
	v_cmp_gt_u32_e32 vcc, v52, v7
	s_waitcnt lgkmcnt(0)
	v_lshl_add_u64 v[20:21], v[60:61], 0, v[18:19]
	v_cndmask_b32_e32 v59, v20, v59, vcc
	v_cndmask_b32_e32 v19, v21, v19, vcc
	ds_bpermute_b32 v60, v53, v59
	ds_bpermute_b32 v61, v53, v19
	v_cndmask_b32_e32 v18, v20, v18, vcc
	v_cmp_gt_u32_e32 vcc, v54, v7
	s_waitcnt lgkmcnt(0)
	v_lshl_add_u64 v[20:21], v[60:61], 0, v[18:19]
	v_cndmask_b32_e32 v59, v20, v59, vcc
	v_cndmask_b32_e32 v19, v21, v19, vcc
	ds_bpermute_b32 v60, v55, v59
	ds_bpermute_b32 v61, v55, v19
	v_cndmask_b32_e32 v18, v20, v18, vcc
	v_cmp_gt_u32_e32 vcc, v56, v7
	s_waitcnt lgkmcnt(0)
	v_lshl_add_u64 v[20:21], v[60:61], 0, v[18:19]
	v_cndmask_b32_e32 v60, v21, v19, vcc
	v_cndmask_b32_e32 v59, v20, v59, vcc
	ds_bpermute_b32 v59, v57, v59
	ds_bpermute_b32 v60, v57, v60
	s_and_saveexec_b64 s[6:7], s[4:5]
	s_cbranch_execz .LBB29_326
; %bb.334:                              ;   in Loop: Header=BB29_328 Depth=1
	v_cndmask_b32_e32 v5, v21, v19, vcc
	v_cndmask_b32_e32 v4, v20, v18, vcc
	v_cmp_le_u32_e32 vcc, v58, v7
	s_waitcnt lgkmcnt(0)
	s_nop 0
	v_cndmask_b32_e32 v19, 0, v60, vcc
	v_cndmask_b32_e32 v18, 0, v59, vcc
	v_lshl_add_u64 v[4:5], v[18:19], 0, v[4:5]
	s_branch .LBB29_326
.LBB29_335:
                                        ; implicit-def: $vgpr0_vgpr1
                                        ; implicit-def: $vgpr4_vgpr5
	s_and_b64 vcc, exec, s[4:5]
	s_cbranch_vccnz .LBB29_341
	s_branch .LBB29_352
.LBB29_336:
	s_and_saveexec_b64 s[4:5], s[2:3]
	s_cbranch_execz .LBB29_338
; %bb.337:
	s_add_i32 s6, s14, 64
	s_mov_b32 s7, 0
	s_lshl_b64 s[6:7], s[6:7], 4
	s_add_u32 s6, s12, s6
	s_addc_u32 s7, s13, s7
	v_lshl_add_u64 v[4:5], v[2:3], 0, v[0:1]
	v_mov_b32_e32 v6, 2
	v_mov_b32_e32 v7, 0
	v_mov_b64_e32 v[14:15], s[6:7]
	;;#ASMSTART
	global_store_dwordx4 v[14:15], v[4:7] off sc1	
s_waitcnt vmcnt(0)
	;;#ASMEND
	ds_write_b128 v7, v[0:3] offset:32
.LBB29_338:
	s_or_b64 exec, exec, s[4:5]
	s_and_b64 exec, exec, s[0:1]
; %bb.339:
	v_mov_b32_e32 v0, 0
	ds_write_b64 v0, v[2:3] offset:24
.LBB29_340:
	s_or_b64 exec, exec, s[24:25]
	v_mov_b32_e32 v0, 0
	s_waitcnt lgkmcnt(0)
	s_barrier
	ds_read_b64 v[2:3], v0 offset:24
	s_waitcnt lgkmcnt(0)
	s_barrier
	ds_read_b64 v[0:1], v0 offset:40
	v_cndmask_b32_e64 v4, v45, v12, s[2:3]
	v_cndmask_b32_e64 v5, 0, v13, s[2:3]
	;; [unrolled: 1-line block ×4, first 2 shown]
	v_lshl_add_u64 v[4:5], v[2:3], 0, v[4:5]
	s_branch .LBB29_352
.LBB29_341:
	s_waitcnt lgkmcnt(0)
	v_mov_b32_e32 v0, 0
	v_mbcnt_hi_u32_b32 v4, -1, v44
	v_mov_b32_dpp v2, v10 row_shr:1 row_mask:0xf bank_mask:0xf
	v_mov_b32_e32 v3, v0
	v_and_b32_e32 v5, 15, v4
	v_mov_b32_dpp v1, v0 row_shr:1 row_mask:0xf bank_mask:0xf
	v_lshl_add_u64 v[2:3], v[2:3], 0, v[10:11]
	v_lshl_add_u64 v[0:1], v[0:1], 0, v[2:3]
	v_cmp_eq_u32_e32 vcc, 0, v5
	v_cmp_ne_u32_e64 s[4:5], 0, v4
	s_nop 0
	v_cndmask_b32_e64 v1, v1, 0, vcc
	v_cndmask_b32_e32 v6, v2, v10, vcc
	v_cndmask_b32_e32 v0, v0, v10, vcc
	v_mov_b32_dpp v3, v1 row_shr:2 row_mask:0xf bank_mask:0xf
	v_mov_b32_dpp v2, v6 row_shr:2 row_mask:0xf bank_mask:0xf
	v_lshl_add_u64 v[2:3], v[2:3], 0, v[0:1]
	v_cmp_lt_u32_e32 vcc, 1, v5
	s_nop 1
	v_cndmask_b32_e32 v1, v1, v3, vcc
	v_cndmask_b32_e32 v6, v6, v2, vcc
	v_cndmask_b32_e32 v0, v0, v2, vcc
	v_mov_b32_dpp v3, v1 row_shr:4 row_mask:0xf bank_mask:0xf
	v_mov_b32_dpp v2, v6 row_shr:4 row_mask:0xf bank_mask:0xf
	v_lshl_add_u64 v[2:3], v[2:3], 0, v[0:1]
	v_cmp_lt_u32_e32 vcc, 3, v5
	s_nop 1
	v_cndmask_b32_e32 v1, v1, v3, vcc
	;; [unrolled: 8-line block ×3, first 2 shown]
	v_cndmask_b32_e32 v5, v6, v2, vcc
	v_cndmask_b32_e32 v0, v0, v2, vcc
	v_mov_b32_dpp v3, v1 row_bcast:15 row_mask:0xf bank_mask:0xf
	v_mov_b32_dpp v2, v5 row_bcast:15 row_mask:0xf bank_mask:0xf
	v_and_b32_e32 v6, 16, v4
	v_lshl_add_u64 v[2:3], v[2:3], 0, v[0:1]
	v_cmp_eq_u32_e64 s[2:3], 0, v6
	v_cmp_eq_u32_e32 vcc, 0, v4
	s_nop 0
	v_cndmask_b32_e64 v6, v3, v1, s[2:3]
	v_cndmask_b32_e64 v5, v2, v5, s[2:3]
	s_nop 0
	v_mov_b32_dpp v6, v6 row_bcast:31 row_mask:0xf bank_mask:0xf
	v_mov_b32_dpp v5, v5 row_bcast:31 row_mask:0xf bank_mask:0xf
	s_and_saveexec_b64 s[6:7], s[4:5]
; %bb.342:
	v_cndmask_b32_e64 v1, v3, v1, s[2:3]
	v_cndmask_b32_e64 v0, v2, v0, s[2:3]
	v_cmp_lt_u32_e64 s[2:3], 31, v4
	s_nop 1
	v_cndmask_b32_e64 v3, 0, v6, s[2:3]
	v_cndmask_b32_e64 v2, 0, v5, s[2:3]
	v_lshl_add_u64 v[10:11], v[2:3], 0, v[0:1]
; %bb.343:
	s_or_b64 exec, exec, s[6:7]
	v_and_b32_e32 v0, 0x3c0, v24
	v_min_u32_e32 v0, 0xc0, v0
	v_or_b32_e32 v0, 63, v0
	v_lshrrev_b32_e32 v2, 6, v24
	v_cmp_eq_u32_e64 s[2:3], v24, v0
	s_and_saveexec_b64 s[4:5], s[2:3]
; %bb.344:
	v_lshlrev_b32_e32 v0, 3, v2
	ds_write_b64 v0, v[10:11]
; %bb.345:
	s_or_b64 exec, exec, s[4:5]
	v_cmp_gt_u32_e64 s[2:3], 4, v24
	s_waitcnt lgkmcnt(0)
	s_barrier
	s_and_saveexec_b64 s[6:7], s[2:3]
	s_cbranch_execz .LBB29_347
; %bb.346:
	v_lshl_add_u32 v3, v24, 2, v8
	ds_read_b64 v[0:1], v3
	v_mov_b32_e32 v6, 0
	v_mov_b32_e32 v13, v6
	v_and_b32_e32 v5, 3, v4
	v_cmp_eq_u32_e64 s[2:3], 0, v5
	s_waitcnt lgkmcnt(0)
	v_mov_b32_dpp v12, v0 row_shr:1 row_mask:0xf bank_mask:0xf
	v_mov_b32_dpp v7, v1 row_shr:1 row_mask:0xf bank_mask:0xf
	v_lshl_add_u64 v[12:13], v[0:1], 0, v[12:13]
	v_lshl_add_u64 v[6:7], v[6:7], 0, v[12:13]
	v_cndmask_b32_e64 v8, v7, v1, s[2:3]
	v_cndmask_b32_e64 v11, v12, v0, s[2:3]
	v_cmp_ne_u32_e64 s[4:5], 1, v5
	v_mov_b32_dpp v8, v8 row_shr:2 row_mask:0xf bank_mask:0xf
	v_mov_b32_dpp v11, v11 row_shr:2 row_mask:0xf bank_mask:0xf
	v_cndmask_b32_e64 v12, 0, v11, s[4:5]
	v_cndmask_b32_e64 v13, 0, v8, s[4:5]
	v_lshl_add_u64 v[6:7], v[12:13], 0, v[6:7]
	v_cndmask_b32_e64 v1, v7, v1, s[2:3]
	v_cndmask_b32_e64 v0, v6, v0, s[2:3]
	ds_write_b64 v3, v[0:1]
.LBB29_347:
	s_or_b64 exec, exec, s[6:7]
	v_cmp_lt_u32_e64 s[2:3], 63, v24
	v_mov_b64_e32 v[0:1], 0
	s_waitcnt lgkmcnt(0)
	s_barrier
	s_and_saveexec_b64 s[4:5], s[2:3]
; %bb.348:
	v_lshl_add_u32 v0, v2, 3, -8
	ds_read_b64 v[0:1], v0
; %bb.349:
	s_or_b64 exec, exec, s[4:5]
	v_add_u32_e32 v2, -1, v4
	v_and_b32_e32 v3, 64, v4
	v_cmp_lt_i32_e64 s[2:3], v2, v3
	s_waitcnt lgkmcnt(0)
	v_add_u32_e32 v1, v0, v10
	v_mov_b32_e32 v3, 0
	v_cndmask_b32_e64 v2, v2, v4, s[2:3]
	v_lshlrev_b32_e32 v2, 2, v2
	ds_bpermute_b32 v1, v2, v1
	s_waitcnt lgkmcnt(0)
	v_cndmask_b32_e32 v4, v1, v0, vcc
	s_and_saveexec_b64 s[2:3], s[0:1]
	s_cbranch_execz .LBB29_351
; %bb.350:
	s_add_u32 s0, s12, 0x400
	s_addc_u32 s1, s13, 0
	ds_read_b64 v[0:1], v3 offset:24
	v_mov_b32_e32 v2, 2
	v_mov_b64_e32 v[6:7], s[0:1]
	s_waitcnt lgkmcnt(0)
	;;#ASMSTART
	global_store_dwordx4 v[6:7], v[0:3] off sc1	
s_waitcnt vmcnt(0)
	;;#ASMEND
.LBB29_351:
	s_or_b64 exec, exec, s[2:3]
	v_mov_b64_e32 v[0:1], 0
.LBB29_352:
	s_xor_b64 s[0:1], s[8:9], -1
	s_xor_b64 s[2:3], s[10:11], -1
	;; [unrolled: 1-line block ×5, first 2 shown]
	s_waitcnt lgkmcnt(0)
	v_sub_u32_e32 v0, v4, v0
	s_barrier
	s_and_saveexec_b64 s[10:11], s[20:21]
	s_cbranch_execnz .LBB29_380
; %bb.353:
	s_or_b64 exec, exec, s[10:11]
	s_and_saveexec_b64 s[10:11], s[8:9]
	s_cbranch_execnz .LBB29_381
.LBB29_354:
	s_or_b64 exec, exec, s[10:11]
	s_and_saveexec_b64 s[8:9], s[6:7]
	s_cbranch_execnz .LBB29_382
.LBB29_355:
	s_or_b64 exec, exec, s[8:9]
	s_and_saveexec_b64 s[6:7], s[4:5]
	s_cbranch_execnz .LBB29_383
.LBB29_356:
	s_or_b64 exec, exec, s[6:7]
	s_and_saveexec_b64 s[4:5], s[2:3]
	s_cbranch_execnz .LBB29_384
.LBB29_357:
	s_or_b64 exec, exec, s[4:5]
	s_and_saveexec_b64 s[2:3], s[0:1]
.LBB29_358:
	v_lshlrev_b32_e32 v1, 2, v0
	v_add_u32_e32 v0, 1, v0
	ds_write_b32 v1, v28 offset:1024
.LBB29_359:
	s_or_b64 exec, exec, s[2:3]
	v_and_b32_e32 v1, 64, v43
	v_cmp_ne_u32_e32 vcc, 0, v1
	s_and_saveexec_b64 s[0:1], vcc
; %bb.360:
	v_lshlrev_b32_e32 v1, 2, v0
	v_add_u32_e32 v0, 1, v0
	ds_write_b32 v1, v29 offset:1024
; %bb.361:
	s_or_b64 exec, exec, s[0:1]
	v_and_b32_e32 v1, 0x80, v42
	v_cmp_ne_u32_e32 vcc, 0, v1
	s_and_saveexec_b64 s[0:1], vcc
; %bb.362:
	v_lshlrev_b32_e32 v1, 2, v0
	v_add_u32_e32 v0, 1, v0
	ds_write_b32 v1, v30 offset:1024
; %bb.363:
	;; [unrolled: 9-line block ×9, first 2 shown]
	s_or_b64 exec, exec, s[0:1]
	v_and_b32_e32 v1, 0x8000, v25
	v_cmp_ne_u32_e32 vcc, 0, v1
	s_and_saveexec_b64 s[0:1], vcc
; %bb.378:
	v_lshlrev_b32_e32 v0, 2, v0
	ds_write_b32 v0, v38 offset:1024
; %bb.379:
	s_or_b64 exec, exec, s[0:1]
	s_waitcnt lgkmcnt(0)
	s_barrier
	s_endpgm
.LBB29_380:
	v_lshlrev_b32_e32 v1, 2, v0
	v_add_u32_e32 v0, 1, v0
	ds_write_b32 v1, v22 offset:1024
	s_or_b64 exec, exec, s[10:11]
	s_and_saveexec_b64 s[10:11], s[8:9]
	s_cbranch_execz .LBB29_354
.LBB29_381:
	v_lshlrev_b32_e32 v1, 2, v0
	v_add_u32_e32 v0, 1, v0
	ds_write_b32 v1, v9 offset:1024
	s_or_b64 exec, exec, s[10:11]
	s_and_saveexec_b64 s[8:9], s[6:7]
	s_cbranch_execz .LBB29_355
.LBB29_382:
	v_lshlrev_b32_e32 v1, 2, v0
	v_add_u32_e32 v0, 1, v0
	ds_write_b32 v1, v23 offset:1024
	s_or_b64 exec, exec, s[8:9]
	s_and_saveexec_b64 s[6:7], s[4:5]
	s_cbranch_execz .LBB29_356
.LBB29_383:
	v_lshlrev_b32_e32 v1, 2, v0
	v_add_u32_e32 v0, 1, v0
	ds_write_b32 v1, v26 offset:1024
	s_or_b64 exec, exec, s[6:7]
	s_and_saveexec_b64 s[4:5], s[2:3]
	s_cbranch_execz .LBB29_357
.LBB29_384:
	v_lshlrev_b32_e32 v1, 2, v0
	v_add_u32_e32 v0, 1, v0
	ds_write_b32 v1, v27 offset:1024
	s_or_b64 exec, exec, s[4:5]
	s_and_saveexec_b64 s[2:3], s[0:1]
	s_cbranch_execnz .LBB29_358
	s_branch .LBB29_359
	.section	.rodata,"a",@progbits
	.p2align	6, 0x0
	.amdhsa_kernel _ZN6thrust23THRUST_200600_302600_NS11hip_rocprim16__set_operations22lookback_set_op_kernelIN7rocprim17ROCPRIM_400000_NS13kernel_configILj256ELj16ELj4294967295EEELb0ENS0_6detail15normal_iteratorINS0_10device_ptrIKiEEEESD_PiSE_lNS0_16discard_iteratorINS0_11use_defaultEEESE_NS0_4lessIiEENS2_23serial_set_intersectionENS5_6detail19lookback_scan_stateIlLb0ELb1EEEEEvT1_T2_T3_T4_T6_T7_T8_T9_PNS0_4pairIT5_SX_EEPSX_T10_NSL_16ordered_block_idIjEE
		.amdhsa_group_segment_fixed_size 36868
		.amdhsa_private_segment_fixed_size 0
		.amdhsa_kernarg_size 352
		.amdhsa_user_sgpr_count 2
		.amdhsa_user_sgpr_dispatch_ptr 0
		.amdhsa_user_sgpr_queue_ptr 0
		.amdhsa_user_sgpr_kernarg_segment_ptr 1
		.amdhsa_user_sgpr_dispatch_id 0
		.amdhsa_user_sgpr_kernarg_preload_length 0
		.amdhsa_user_sgpr_kernarg_preload_offset 0
		.amdhsa_user_sgpr_private_segment_size 0
		.amdhsa_uses_dynamic_stack 0
		.amdhsa_enable_private_segment 0
		.amdhsa_system_sgpr_workgroup_id_x 1
		.amdhsa_system_sgpr_workgroup_id_y 0
		.amdhsa_system_sgpr_workgroup_id_z 0
		.amdhsa_system_sgpr_workgroup_info 0
		.amdhsa_system_vgpr_workitem_id 2
		.amdhsa_next_free_vgpr 97
		.amdhsa_next_free_sgpr 96
		.amdhsa_accum_offset 76
		.amdhsa_reserve_vcc 1
		.amdhsa_float_round_mode_32 0
		.amdhsa_float_round_mode_16_64 0
		.amdhsa_float_denorm_mode_32 3
		.amdhsa_float_denorm_mode_16_64 3
		.amdhsa_dx10_clamp 1
		.amdhsa_ieee_mode 1
		.amdhsa_fp16_overflow 0
		.amdhsa_tg_split 0
		.amdhsa_exception_fp_ieee_invalid_op 0
		.amdhsa_exception_fp_denorm_src 0
		.amdhsa_exception_fp_ieee_div_zero 0
		.amdhsa_exception_fp_ieee_overflow 0
		.amdhsa_exception_fp_ieee_underflow 0
		.amdhsa_exception_fp_ieee_inexact 0
		.amdhsa_exception_int_div_zero 0
	.end_amdhsa_kernel
	.section	.text._ZN6thrust23THRUST_200600_302600_NS11hip_rocprim16__set_operations22lookback_set_op_kernelIN7rocprim17ROCPRIM_400000_NS13kernel_configILj256ELj16ELj4294967295EEELb0ENS0_6detail15normal_iteratorINS0_10device_ptrIKiEEEESD_PiSE_lNS0_16discard_iteratorINS0_11use_defaultEEESE_NS0_4lessIiEENS2_23serial_set_intersectionENS5_6detail19lookback_scan_stateIlLb0ELb1EEEEEvT1_T2_T3_T4_T6_T7_T8_T9_PNS0_4pairIT5_SX_EEPSX_T10_NSL_16ordered_block_idIjEE,"axG",@progbits,_ZN6thrust23THRUST_200600_302600_NS11hip_rocprim16__set_operations22lookback_set_op_kernelIN7rocprim17ROCPRIM_400000_NS13kernel_configILj256ELj16ELj4294967295EEELb0ENS0_6detail15normal_iteratorINS0_10device_ptrIKiEEEESD_PiSE_lNS0_16discard_iteratorINS0_11use_defaultEEESE_NS0_4lessIiEENS2_23serial_set_intersectionENS5_6detail19lookback_scan_stateIlLb0ELb1EEEEEvT1_T2_T3_T4_T6_T7_T8_T9_PNS0_4pairIT5_SX_EEPSX_T10_NSL_16ordered_block_idIjEE,comdat
.Lfunc_end29:
	.size	_ZN6thrust23THRUST_200600_302600_NS11hip_rocprim16__set_operations22lookback_set_op_kernelIN7rocprim17ROCPRIM_400000_NS13kernel_configILj256ELj16ELj4294967295EEELb0ENS0_6detail15normal_iteratorINS0_10device_ptrIKiEEEESD_PiSE_lNS0_16discard_iteratorINS0_11use_defaultEEESE_NS0_4lessIiEENS2_23serial_set_intersectionENS5_6detail19lookback_scan_stateIlLb0ELb1EEEEEvT1_T2_T3_T4_T6_T7_T8_T9_PNS0_4pairIT5_SX_EEPSX_T10_NSL_16ordered_block_idIjEE, .Lfunc_end29-_ZN6thrust23THRUST_200600_302600_NS11hip_rocprim16__set_operations22lookback_set_op_kernelIN7rocprim17ROCPRIM_400000_NS13kernel_configILj256ELj16ELj4294967295EEELb0ENS0_6detail15normal_iteratorINS0_10device_ptrIKiEEEESD_PiSE_lNS0_16discard_iteratorINS0_11use_defaultEEESE_NS0_4lessIiEENS2_23serial_set_intersectionENS5_6detail19lookback_scan_stateIlLb0ELb1EEEEEvT1_T2_T3_T4_T6_T7_T8_T9_PNS0_4pairIT5_SX_EEPSX_T10_NSL_16ordered_block_idIjEE
                                        ; -- End function
	.set _ZN6thrust23THRUST_200600_302600_NS11hip_rocprim16__set_operations22lookback_set_op_kernelIN7rocprim17ROCPRIM_400000_NS13kernel_configILj256ELj16ELj4294967295EEELb0ENS0_6detail15normal_iteratorINS0_10device_ptrIKiEEEESD_PiSE_lNS0_16discard_iteratorINS0_11use_defaultEEESE_NS0_4lessIiEENS2_23serial_set_intersectionENS5_6detail19lookback_scan_stateIlLb0ELb1EEEEEvT1_T2_T3_T4_T6_T7_T8_T9_PNS0_4pairIT5_SX_EEPSX_T10_NSL_16ordered_block_idIjEE.num_vgpr, 73
	.set _ZN6thrust23THRUST_200600_302600_NS11hip_rocprim16__set_operations22lookback_set_op_kernelIN7rocprim17ROCPRIM_400000_NS13kernel_configILj256ELj16ELj4294967295EEELb0ENS0_6detail15normal_iteratorINS0_10device_ptrIKiEEEESD_PiSE_lNS0_16discard_iteratorINS0_11use_defaultEEESE_NS0_4lessIiEENS2_23serial_set_intersectionENS5_6detail19lookback_scan_stateIlLb0ELb1EEEEEvT1_T2_T3_T4_T6_T7_T8_T9_PNS0_4pairIT5_SX_EEPSX_T10_NSL_16ordered_block_idIjEE.num_agpr, 0
	.set _ZN6thrust23THRUST_200600_302600_NS11hip_rocprim16__set_operations22lookback_set_op_kernelIN7rocprim17ROCPRIM_400000_NS13kernel_configILj256ELj16ELj4294967295EEELb0ENS0_6detail15normal_iteratorINS0_10device_ptrIKiEEEESD_PiSE_lNS0_16discard_iteratorINS0_11use_defaultEEESE_NS0_4lessIiEENS2_23serial_set_intersectionENS5_6detail19lookback_scan_stateIlLb0ELb1EEEEEvT1_T2_T3_T4_T6_T7_T8_T9_PNS0_4pairIT5_SX_EEPSX_T10_NSL_16ordered_block_idIjEE.numbered_sgpr, 30
	.set _ZN6thrust23THRUST_200600_302600_NS11hip_rocprim16__set_operations22lookback_set_op_kernelIN7rocprim17ROCPRIM_400000_NS13kernel_configILj256ELj16ELj4294967295EEELb0ENS0_6detail15normal_iteratorINS0_10device_ptrIKiEEEESD_PiSE_lNS0_16discard_iteratorINS0_11use_defaultEEESE_NS0_4lessIiEENS2_23serial_set_intersectionENS5_6detail19lookback_scan_stateIlLb0ELb1EEEEEvT1_T2_T3_T4_T6_T7_T8_T9_PNS0_4pairIT5_SX_EEPSX_T10_NSL_16ordered_block_idIjEE.num_named_barrier, 0
	.set _ZN6thrust23THRUST_200600_302600_NS11hip_rocprim16__set_operations22lookback_set_op_kernelIN7rocprim17ROCPRIM_400000_NS13kernel_configILj256ELj16ELj4294967295EEELb0ENS0_6detail15normal_iteratorINS0_10device_ptrIKiEEEESD_PiSE_lNS0_16discard_iteratorINS0_11use_defaultEEESE_NS0_4lessIiEENS2_23serial_set_intersectionENS5_6detail19lookback_scan_stateIlLb0ELb1EEEEEvT1_T2_T3_T4_T6_T7_T8_T9_PNS0_4pairIT5_SX_EEPSX_T10_NSL_16ordered_block_idIjEE.private_seg_size, 0
	.set _ZN6thrust23THRUST_200600_302600_NS11hip_rocprim16__set_operations22lookback_set_op_kernelIN7rocprim17ROCPRIM_400000_NS13kernel_configILj256ELj16ELj4294967295EEELb0ENS0_6detail15normal_iteratorINS0_10device_ptrIKiEEEESD_PiSE_lNS0_16discard_iteratorINS0_11use_defaultEEESE_NS0_4lessIiEENS2_23serial_set_intersectionENS5_6detail19lookback_scan_stateIlLb0ELb1EEEEEvT1_T2_T3_T4_T6_T7_T8_T9_PNS0_4pairIT5_SX_EEPSX_T10_NSL_16ordered_block_idIjEE.uses_vcc, 1
	.set _ZN6thrust23THRUST_200600_302600_NS11hip_rocprim16__set_operations22lookback_set_op_kernelIN7rocprim17ROCPRIM_400000_NS13kernel_configILj256ELj16ELj4294967295EEELb0ENS0_6detail15normal_iteratorINS0_10device_ptrIKiEEEESD_PiSE_lNS0_16discard_iteratorINS0_11use_defaultEEESE_NS0_4lessIiEENS2_23serial_set_intersectionENS5_6detail19lookback_scan_stateIlLb0ELb1EEEEEvT1_T2_T3_T4_T6_T7_T8_T9_PNS0_4pairIT5_SX_EEPSX_T10_NSL_16ordered_block_idIjEE.uses_flat_scratch, 0
	.set _ZN6thrust23THRUST_200600_302600_NS11hip_rocprim16__set_operations22lookback_set_op_kernelIN7rocprim17ROCPRIM_400000_NS13kernel_configILj256ELj16ELj4294967295EEELb0ENS0_6detail15normal_iteratorINS0_10device_ptrIKiEEEESD_PiSE_lNS0_16discard_iteratorINS0_11use_defaultEEESE_NS0_4lessIiEENS2_23serial_set_intersectionENS5_6detail19lookback_scan_stateIlLb0ELb1EEEEEvT1_T2_T3_T4_T6_T7_T8_T9_PNS0_4pairIT5_SX_EEPSX_T10_NSL_16ordered_block_idIjEE.has_dyn_sized_stack, 0
	.set _ZN6thrust23THRUST_200600_302600_NS11hip_rocprim16__set_operations22lookback_set_op_kernelIN7rocprim17ROCPRIM_400000_NS13kernel_configILj256ELj16ELj4294967295EEELb0ENS0_6detail15normal_iteratorINS0_10device_ptrIKiEEEESD_PiSE_lNS0_16discard_iteratorINS0_11use_defaultEEESE_NS0_4lessIiEENS2_23serial_set_intersectionENS5_6detail19lookback_scan_stateIlLb0ELb1EEEEEvT1_T2_T3_T4_T6_T7_T8_T9_PNS0_4pairIT5_SX_EEPSX_T10_NSL_16ordered_block_idIjEE.has_recursion, 0
	.set _ZN6thrust23THRUST_200600_302600_NS11hip_rocprim16__set_operations22lookback_set_op_kernelIN7rocprim17ROCPRIM_400000_NS13kernel_configILj256ELj16ELj4294967295EEELb0ENS0_6detail15normal_iteratorINS0_10device_ptrIKiEEEESD_PiSE_lNS0_16discard_iteratorINS0_11use_defaultEEESE_NS0_4lessIiEENS2_23serial_set_intersectionENS5_6detail19lookback_scan_stateIlLb0ELb1EEEEEvT1_T2_T3_T4_T6_T7_T8_T9_PNS0_4pairIT5_SX_EEPSX_T10_NSL_16ordered_block_idIjEE.has_indirect_call, 0
	.section	.AMDGPU.csdata,"",@progbits
; Kernel info:
; codeLenInByte = 16512
; TotalNumSgprs: 36
; NumVgprs: 73
; NumAgprs: 0
; TotalNumVgprs: 73
; ScratchSize: 0
; MemoryBound: 0
; FloatMode: 240
; IeeeMode: 1
; LDSByteSize: 36868 bytes/workgroup (compile time only)
; SGPRBlocks: 12
; VGPRBlocks: 12
; NumSGPRsForWavesPerEU: 102
; NumVGPRsForWavesPerEU: 97
; AccumOffset: 76
; Occupancy: 4
; WaveLimiterHint : 1
; COMPUTE_PGM_RSRC2:SCRATCH_EN: 0
; COMPUTE_PGM_RSRC2:USER_SGPR: 2
; COMPUTE_PGM_RSRC2:TRAP_HANDLER: 0
; COMPUTE_PGM_RSRC2:TGID_X_EN: 1
; COMPUTE_PGM_RSRC2:TGID_Y_EN: 0
; COMPUTE_PGM_RSRC2:TGID_Z_EN: 0
; COMPUTE_PGM_RSRC2:TIDIG_COMP_CNT: 2
; COMPUTE_PGM_RSRC3_GFX90A:ACCUM_OFFSET: 18
; COMPUTE_PGM_RSRC3_GFX90A:TG_SPLIT: 0
	.section	.AMDGPU.gpr_maximums,"",@progbits
	.set amdgpu.max_num_vgpr, 0
	.set amdgpu.max_num_agpr, 0
	.set amdgpu.max_num_sgpr, 0
	.section	.AMDGPU.csdata,"",@progbits
	.type	__hip_cuid_b2333aef3972255b,@object ; @__hip_cuid_b2333aef3972255b
	.section	.bss,"aw",@nobits
	.globl	__hip_cuid_b2333aef3972255b
__hip_cuid_b2333aef3972255b:
	.byte	0                               ; 0x0
	.size	__hip_cuid_b2333aef3972255b, 1

	.ident	"AMD clang version 22.0.0git (https://github.com/RadeonOpenCompute/llvm-project roc-7.2.4 26084 f58b06dce1f9c15707c5f808fd002e18c2accf7e)"
	.section	".note.GNU-stack","",@progbits
	.addrsig
	.addrsig_sym __hip_cuid_b2333aef3972255b
	.amdgpu_metadata
---
amdhsa.kernels:
  - .agpr_count:     0
    .args:
      - .offset:         0
        .size:           16
        .value_kind:     by_value
      - .offset:         16
        .size:           8
        .value_kind:     by_value
      - .offset:         24
        .size:           8
        .value_kind:     by_value
    .group_segment_fixed_size: 0
    .kernarg_segment_align: 8
    .kernarg_segment_size: 32
    .language:       OpenCL C
    .language_version:
      - 2
      - 0
    .max_flat_workgroup_size: 256
    .name:           _ZN6thrust23THRUST_200600_302600_NS11hip_rocprim14__parallel_for6kernelILj256ENS1_20__uninitialized_fill7functorINS0_10device_ptrIiEEiEEmLj1EEEvT0_T1_SA_
    .private_segment_fixed_size: 0
    .sgpr_count:     22
    .sgpr_spill_count: 0
    .symbol:         _ZN6thrust23THRUST_200600_302600_NS11hip_rocprim14__parallel_for6kernelILj256ENS1_20__uninitialized_fill7functorINS0_10device_ptrIiEEiEEmLj1EEEvT0_T1_SA_.kd
    .uniform_work_group_size: 1
    .uses_dynamic_stack: false
    .vgpr_count:     4
    .vgpr_spill_count: 0
    .wavefront_size: 64
  - .agpr_count:     0
    .args:
      - .offset:         0
        .size:           48
        .value_kind:     by_value
      - .offset:         48
        .size:           4
        .value_kind:     hidden_block_count_x
      - .offset:         52
        .size:           4
        .value_kind:     hidden_block_count_y
      - .offset:         56
        .size:           4
        .value_kind:     hidden_block_count_z
      - .offset:         60
        .size:           2
        .value_kind:     hidden_group_size_x
      - .offset:         62
        .size:           2
        .value_kind:     hidden_group_size_y
      - .offset:         64
        .size:           2
        .value_kind:     hidden_group_size_z
      - .offset:         66
        .size:           2
        .value_kind:     hidden_remainder_x
      - .offset:         68
        .size:           2
        .value_kind:     hidden_remainder_y
      - .offset:         70
        .size:           2
        .value_kind:     hidden_remainder_z
      - .offset:         88
        .size:           8
        .value_kind:     hidden_global_offset_x
      - .offset:         96
        .size:           8
        .value_kind:     hidden_global_offset_y
      - .offset:         104
        .size:           8
        .value_kind:     hidden_global_offset_z
      - .offset:         112
        .size:           2
        .value_kind:     hidden_grid_dims
    .group_segment_fixed_size: 0
    .kernarg_segment_align: 8
    .kernarg_segment_size: 304
    .language:       OpenCL C
    .language_version:
      - 2
      - 0
    .max_flat_workgroup_size: 256
    .name:           _ZN7rocprim17ROCPRIM_400000_NS6detail17trampoline_kernelINS0_14default_configENS1_21merge_config_selectorIiNS0_10empty_typeEEEZNS1_10merge_implIS3_N6thrust23THRUST_200600_302600_NS6detail15normal_iteratorINS9_10device_ptrIKiEEEESF_NSB_INSC_IiEEEEPS5_SI_SI_NS9_4lessIiEEEE10hipError_tPvRmT0_T1_T2_T3_T4_T5_mmT6_P12ihipStream_tbEUlT_E_NS1_11comp_targetILNS1_3genE0ELNS1_11target_archE4294967295ELNS1_3gpuE0ELNS1_3repE0EEENS1_30default_config_static_selectorELNS0_4arch9wavefront6targetE1EEEvSP_
    .private_segment_fixed_size: 0
    .sgpr_count:     23
    .sgpr_spill_count: 0
    .symbol:         _ZN7rocprim17ROCPRIM_400000_NS6detail17trampoline_kernelINS0_14default_configENS1_21merge_config_selectorIiNS0_10empty_typeEEEZNS1_10merge_implIS3_N6thrust23THRUST_200600_302600_NS6detail15normal_iteratorINS9_10device_ptrIKiEEEESF_NSB_INSC_IiEEEEPS5_SI_SI_NS9_4lessIiEEEE10hipError_tPvRmT0_T1_T2_T3_T4_T5_mmT6_P12ihipStream_tbEUlT_E_NS1_11comp_targetILNS1_3genE0ELNS1_11target_archE4294967295ELNS1_3gpuE0ELNS1_3repE0EEENS1_30default_config_static_selectorELNS0_4arch9wavefront6targetE1EEEvSP_.kd
    .uniform_work_group_size: 1
    .uses_dynamic_stack: false
    .vgpr_count:     14
    .vgpr_spill_count: 0
    .wavefront_size: 64
  - .agpr_count:     0
    .args:
      - .offset:         0
        .size:           48
        .value_kind:     by_value
    .group_segment_fixed_size: 0
    .kernarg_segment_align: 8
    .kernarg_segment_size: 48
    .language:       OpenCL C
    .language_version:
      - 2
      - 0
    .max_flat_workgroup_size: 256
    .name:           _ZN7rocprim17ROCPRIM_400000_NS6detail17trampoline_kernelINS0_14default_configENS1_21merge_config_selectorIiNS0_10empty_typeEEEZNS1_10merge_implIS3_N6thrust23THRUST_200600_302600_NS6detail15normal_iteratorINS9_10device_ptrIKiEEEESF_NSB_INSC_IiEEEEPS5_SI_SI_NS9_4lessIiEEEE10hipError_tPvRmT0_T1_T2_T3_T4_T5_mmT6_P12ihipStream_tbEUlT_E_NS1_11comp_targetILNS1_3genE5ELNS1_11target_archE942ELNS1_3gpuE9ELNS1_3repE0EEENS1_30default_config_static_selectorELNS0_4arch9wavefront6targetE1EEEvSP_
    .private_segment_fixed_size: 0
    .sgpr_count:     6
    .sgpr_spill_count: 0
    .symbol:         _ZN7rocprim17ROCPRIM_400000_NS6detail17trampoline_kernelINS0_14default_configENS1_21merge_config_selectorIiNS0_10empty_typeEEEZNS1_10merge_implIS3_N6thrust23THRUST_200600_302600_NS6detail15normal_iteratorINS9_10device_ptrIKiEEEESF_NSB_INSC_IiEEEEPS5_SI_SI_NS9_4lessIiEEEE10hipError_tPvRmT0_T1_T2_T3_T4_T5_mmT6_P12ihipStream_tbEUlT_E_NS1_11comp_targetILNS1_3genE5ELNS1_11target_archE942ELNS1_3gpuE9ELNS1_3repE0EEENS1_30default_config_static_selectorELNS0_4arch9wavefront6targetE1EEEvSP_.kd
    .uniform_work_group_size: 1
    .uses_dynamic_stack: false
    .vgpr_count:     0
    .vgpr_spill_count: 0
    .wavefront_size: 64
  - .agpr_count:     0
    .args:
      - .offset:         0
        .size:           48
        .value_kind:     by_value
    .group_segment_fixed_size: 0
    .kernarg_segment_align: 8
    .kernarg_segment_size: 48
    .language:       OpenCL C
    .language_version:
      - 2
      - 0
    .max_flat_workgroup_size: 256
    .name:           _ZN7rocprim17ROCPRIM_400000_NS6detail17trampoline_kernelINS0_14default_configENS1_21merge_config_selectorIiNS0_10empty_typeEEEZNS1_10merge_implIS3_N6thrust23THRUST_200600_302600_NS6detail15normal_iteratorINS9_10device_ptrIKiEEEESF_NSB_INSC_IiEEEEPS5_SI_SI_NS9_4lessIiEEEE10hipError_tPvRmT0_T1_T2_T3_T4_T5_mmT6_P12ihipStream_tbEUlT_E_NS1_11comp_targetILNS1_3genE4ELNS1_11target_archE910ELNS1_3gpuE8ELNS1_3repE0EEENS1_30default_config_static_selectorELNS0_4arch9wavefront6targetE1EEEvSP_
    .private_segment_fixed_size: 0
    .sgpr_count:     6
    .sgpr_spill_count: 0
    .symbol:         _ZN7rocprim17ROCPRIM_400000_NS6detail17trampoline_kernelINS0_14default_configENS1_21merge_config_selectorIiNS0_10empty_typeEEEZNS1_10merge_implIS3_N6thrust23THRUST_200600_302600_NS6detail15normal_iteratorINS9_10device_ptrIKiEEEESF_NSB_INSC_IiEEEEPS5_SI_SI_NS9_4lessIiEEEE10hipError_tPvRmT0_T1_T2_T3_T4_T5_mmT6_P12ihipStream_tbEUlT_E_NS1_11comp_targetILNS1_3genE4ELNS1_11target_archE910ELNS1_3gpuE8ELNS1_3repE0EEENS1_30default_config_static_selectorELNS0_4arch9wavefront6targetE1EEEvSP_.kd
    .uniform_work_group_size: 1
    .uses_dynamic_stack: false
    .vgpr_count:     0
    .vgpr_spill_count: 0
    .wavefront_size: 64
  - .agpr_count:     0
    .args:
      - .offset:         0
        .size:           48
        .value_kind:     by_value
    .group_segment_fixed_size: 0
    .kernarg_segment_align: 8
    .kernarg_segment_size: 48
    .language:       OpenCL C
    .language_version:
      - 2
      - 0
    .max_flat_workgroup_size: 256
    .name:           _ZN7rocprim17ROCPRIM_400000_NS6detail17trampoline_kernelINS0_14default_configENS1_21merge_config_selectorIiNS0_10empty_typeEEEZNS1_10merge_implIS3_N6thrust23THRUST_200600_302600_NS6detail15normal_iteratorINS9_10device_ptrIKiEEEESF_NSB_INSC_IiEEEEPS5_SI_SI_NS9_4lessIiEEEE10hipError_tPvRmT0_T1_T2_T3_T4_T5_mmT6_P12ihipStream_tbEUlT_E_NS1_11comp_targetILNS1_3genE3ELNS1_11target_archE908ELNS1_3gpuE7ELNS1_3repE0EEENS1_30default_config_static_selectorELNS0_4arch9wavefront6targetE1EEEvSP_
    .private_segment_fixed_size: 0
    .sgpr_count:     6
    .sgpr_spill_count: 0
    .symbol:         _ZN7rocprim17ROCPRIM_400000_NS6detail17trampoline_kernelINS0_14default_configENS1_21merge_config_selectorIiNS0_10empty_typeEEEZNS1_10merge_implIS3_N6thrust23THRUST_200600_302600_NS6detail15normal_iteratorINS9_10device_ptrIKiEEEESF_NSB_INSC_IiEEEEPS5_SI_SI_NS9_4lessIiEEEE10hipError_tPvRmT0_T1_T2_T3_T4_T5_mmT6_P12ihipStream_tbEUlT_E_NS1_11comp_targetILNS1_3genE3ELNS1_11target_archE908ELNS1_3gpuE7ELNS1_3repE0EEENS1_30default_config_static_selectorELNS0_4arch9wavefront6targetE1EEEvSP_.kd
    .uniform_work_group_size: 1
    .uses_dynamic_stack: false
    .vgpr_count:     0
    .vgpr_spill_count: 0
    .wavefront_size: 64
  - .agpr_count:     0
    .args:
      - .offset:         0
        .size:           48
        .value_kind:     by_value
    .group_segment_fixed_size: 0
    .kernarg_segment_align: 8
    .kernarg_segment_size: 48
    .language:       OpenCL C
    .language_version:
      - 2
      - 0
    .max_flat_workgroup_size: 256
    .name:           _ZN7rocprim17ROCPRIM_400000_NS6detail17trampoline_kernelINS0_14default_configENS1_21merge_config_selectorIiNS0_10empty_typeEEEZNS1_10merge_implIS3_N6thrust23THRUST_200600_302600_NS6detail15normal_iteratorINS9_10device_ptrIKiEEEESF_NSB_INSC_IiEEEEPS5_SI_SI_NS9_4lessIiEEEE10hipError_tPvRmT0_T1_T2_T3_T4_T5_mmT6_P12ihipStream_tbEUlT_E_NS1_11comp_targetILNS1_3genE2ELNS1_11target_archE906ELNS1_3gpuE6ELNS1_3repE0EEENS1_30default_config_static_selectorELNS0_4arch9wavefront6targetE1EEEvSP_
    .private_segment_fixed_size: 0
    .sgpr_count:     6
    .sgpr_spill_count: 0
    .symbol:         _ZN7rocprim17ROCPRIM_400000_NS6detail17trampoline_kernelINS0_14default_configENS1_21merge_config_selectorIiNS0_10empty_typeEEEZNS1_10merge_implIS3_N6thrust23THRUST_200600_302600_NS6detail15normal_iteratorINS9_10device_ptrIKiEEEESF_NSB_INSC_IiEEEEPS5_SI_SI_NS9_4lessIiEEEE10hipError_tPvRmT0_T1_T2_T3_T4_T5_mmT6_P12ihipStream_tbEUlT_E_NS1_11comp_targetILNS1_3genE2ELNS1_11target_archE906ELNS1_3gpuE6ELNS1_3repE0EEENS1_30default_config_static_selectorELNS0_4arch9wavefront6targetE1EEEvSP_.kd
    .uniform_work_group_size: 1
    .uses_dynamic_stack: false
    .vgpr_count:     0
    .vgpr_spill_count: 0
    .wavefront_size: 64
  - .agpr_count:     0
    .args:
      - .offset:         0
        .size:           48
        .value_kind:     by_value
    .group_segment_fixed_size: 0
    .kernarg_segment_align: 8
    .kernarg_segment_size: 48
    .language:       OpenCL C
    .language_version:
      - 2
      - 0
    .max_flat_workgroup_size: 1024
    .name:           _ZN7rocprim17ROCPRIM_400000_NS6detail17trampoline_kernelINS0_14default_configENS1_21merge_config_selectorIiNS0_10empty_typeEEEZNS1_10merge_implIS3_N6thrust23THRUST_200600_302600_NS6detail15normal_iteratorINS9_10device_ptrIKiEEEESF_NSB_INSC_IiEEEEPS5_SI_SI_NS9_4lessIiEEEE10hipError_tPvRmT0_T1_T2_T3_T4_T5_mmT6_P12ihipStream_tbEUlT_E_NS1_11comp_targetILNS1_3genE10ELNS1_11target_archE1201ELNS1_3gpuE5ELNS1_3repE0EEENS1_30default_config_static_selectorELNS0_4arch9wavefront6targetE1EEEvSP_
    .private_segment_fixed_size: 0
    .sgpr_count:     6
    .sgpr_spill_count: 0
    .symbol:         _ZN7rocprim17ROCPRIM_400000_NS6detail17trampoline_kernelINS0_14default_configENS1_21merge_config_selectorIiNS0_10empty_typeEEEZNS1_10merge_implIS3_N6thrust23THRUST_200600_302600_NS6detail15normal_iteratorINS9_10device_ptrIKiEEEESF_NSB_INSC_IiEEEEPS5_SI_SI_NS9_4lessIiEEEE10hipError_tPvRmT0_T1_T2_T3_T4_T5_mmT6_P12ihipStream_tbEUlT_E_NS1_11comp_targetILNS1_3genE10ELNS1_11target_archE1201ELNS1_3gpuE5ELNS1_3repE0EEENS1_30default_config_static_selectorELNS0_4arch9wavefront6targetE1EEEvSP_.kd
    .uniform_work_group_size: 1
    .uses_dynamic_stack: false
    .vgpr_count:     0
    .vgpr_spill_count: 0
    .wavefront_size: 64
  - .agpr_count:     0
    .args:
      - .offset:         0
        .size:           48
        .value_kind:     by_value
    .group_segment_fixed_size: 0
    .kernarg_segment_align: 8
    .kernarg_segment_size: 48
    .language:       OpenCL C
    .language_version:
      - 2
      - 0
    .max_flat_workgroup_size: 1024
    .name:           _ZN7rocprim17ROCPRIM_400000_NS6detail17trampoline_kernelINS0_14default_configENS1_21merge_config_selectorIiNS0_10empty_typeEEEZNS1_10merge_implIS3_N6thrust23THRUST_200600_302600_NS6detail15normal_iteratorINS9_10device_ptrIKiEEEESF_NSB_INSC_IiEEEEPS5_SI_SI_NS9_4lessIiEEEE10hipError_tPvRmT0_T1_T2_T3_T4_T5_mmT6_P12ihipStream_tbEUlT_E_NS1_11comp_targetILNS1_3genE10ELNS1_11target_archE1200ELNS1_3gpuE4ELNS1_3repE0EEENS1_30default_config_static_selectorELNS0_4arch9wavefront6targetE1EEEvSP_
    .private_segment_fixed_size: 0
    .sgpr_count:     6
    .sgpr_spill_count: 0
    .symbol:         _ZN7rocprim17ROCPRIM_400000_NS6detail17trampoline_kernelINS0_14default_configENS1_21merge_config_selectorIiNS0_10empty_typeEEEZNS1_10merge_implIS3_N6thrust23THRUST_200600_302600_NS6detail15normal_iteratorINS9_10device_ptrIKiEEEESF_NSB_INSC_IiEEEEPS5_SI_SI_NS9_4lessIiEEEE10hipError_tPvRmT0_T1_T2_T3_T4_T5_mmT6_P12ihipStream_tbEUlT_E_NS1_11comp_targetILNS1_3genE10ELNS1_11target_archE1200ELNS1_3gpuE4ELNS1_3repE0EEENS1_30default_config_static_selectorELNS0_4arch9wavefront6targetE1EEEvSP_.kd
    .uniform_work_group_size: 1
    .uses_dynamic_stack: false
    .vgpr_count:     0
    .vgpr_spill_count: 0
    .wavefront_size: 64
  - .agpr_count:     0
    .args:
      - .offset:         0
        .size:           48
        .value_kind:     by_value
    .group_segment_fixed_size: 0
    .kernarg_segment_align: 8
    .kernarg_segment_size: 48
    .language:       OpenCL C
    .language_version:
      - 2
      - 0
    .max_flat_workgroup_size: 1024
    .name:           _ZN7rocprim17ROCPRIM_400000_NS6detail17trampoline_kernelINS0_14default_configENS1_21merge_config_selectorIiNS0_10empty_typeEEEZNS1_10merge_implIS3_N6thrust23THRUST_200600_302600_NS6detail15normal_iteratorINS9_10device_ptrIKiEEEESF_NSB_INSC_IiEEEEPS5_SI_SI_NS9_4lessIiEEEE10hipError_tPvRmT0_T1_T2_T3_T4_T5_mmT6_P12ihipStream_tbEUlT_E_NS1_11comp_targetILNS1_3genE9ELNS1_11target_archE1100ELNS1_3gpuE3ELNS1_3repE0EEENS1_30default_config_static_selectorELNS0_4arch9wavefront6targetE1EEEvSP_
    .private_segment_fixed_size: 0
    .sgpr_count:     6
    .sgpr_spill_count: 0
    .symbol:         _ZN7rocprim17ROCPRIM_400000_NS6detail17trampoline_kernelINS0_14default_configENS1_21merge_config_selectorIiNS0_10empty_typeEEEZNS1_10merge_implIS3_N6thrust23THRUST_200600_302600_NS6detail15normal_iteratorINS9_10device_ptrIKiEEEESF_NSB_INSC_IiEEEEPS5_SI_SI_NS9_4lessIiEEEE10hipError_tPvRmT0_T1_T2_T3_T4_T5_mmT6_P12ihipStream_tbEUlT_E_NS1_11comp_targetILNS1_3genE9ELNS1_11target_archE1100ELNS1_3gpuE3ELNS1_3repE0EEENS1_30default_config_static_selectorELNS0_4arch9wavefront6targetE1EEEvSP_.kd
    .uniform_work_group_size: 1
    .uses_dynamic_stack: false
    .vgpr_count:     0
    .vgpr_spill_count: 0
    .wavefront_size: 64
  - .agpr_count:     0
    .args:
      - .offset:         0
        .size:           48
        .value_kind:     by_value
    .group_segment_fixed_size: 0
    .kernarg_segment_align: 8
    .kernarg_segment_size: 48
    .language:       OpenCL C
    .language_version:
      - 2
      - 0
    .max_flat_workgroup_size: 1024
    .name:           _ZN7rocprim17ROCPRIM_400000_NS6detail17trampoline_kernelINS0_14default_configENS1_21merge_config_selectorIiNS0_10empty_typeEEEZNS1_10merge_implIS3_N6thrust23THRUST_200600_302600_NS6detail15normal_iteratorINS9_10device_ptrIKiEEEESF_NSB_INSC_IiEEEEPS5_SI_SI_NS9_4lessIiEEEE10hipError_tPvRmT0_T1_T2_T3_T4_T5_mmT6_P12ihipStream_tbEUlT_E_NS1_11comp_targetILNS1_3genE8ELNS1_11target_archE1030ELNS1_3gpuE2ELNS1_3repE0EEENS1_30default_config_static_selectorELNS0_4arch9wavefront6targetE1EEEvSP_
    .private_segment_fixed_size: 0
    .sgpr_count:     6
    .sgpr_spill_count: 0
    .symbol:         _ZN7rocprim17ROCPRIM_400000_NS6detail17trampoline_kernelINS0_14default_configENS1_21merge_config_selectorIiNS0_10empty_typeEEEZNS1_10merge_implIS3_N6thrust23THRUST_200600_302600_NS6detail15normal_iteratorINS9_10device_ptrIKiEEEESF_NSB_INSC_IiEEEEPS5_SI_SI_NS9_4lessIiEEEE10hipError_tPvRmT0_T1_T2_T3_T4_T5_mmT6_P12ihipStream_tbEUlT_E_NS1_11comp_targetILNS1_3genE8ELNS1_11target_archE1030ELNS1_3gpuE2ELNS1_3repE0EEENS1_30default_config_static_selectorELNS0_4arch9wavefront6targetE1EEEvSP_.kd
    .uniform_work_group_size: 1
    .uses_dynamic_stack: false
    .vgpr_count:     0
    .vgpr_spill_count: 0
    .wavefront_size: 64
  - .agpr_count:     0
    .args:
      - .offset:         0
        .size:           88
        .value_kind:     by_value
    .group_segment_fixed_size: 10256
    .kernarg_segment_align: 8
    .kernarg_segment_size: 88
    .language:       OpenCL C
    .language_version:
      - 2
      - 0
    .max_flat_workgroup_size: 256
    .name:           _ZN7rocprim17ROCPRIM_400000_NS6detail17trampoline_kernelINS0_14default_configENS1_21merge_config_selectorIiNS0_10empty_typeEEEZNS1_10merge_implIS3_N6thrust23THRUST_200600_302600_NS6detail15normal_iteratorINS9_10device_ptrIKiEEEESF_NSB_INSC_IiEEEEPS5_SI_SI_NS9_4lessIiEEEE10hipError_tPvRmT0_T1_T2_T3_T4_T5_mmT6_P12ihipStream_tbEUlT_E0_NS1_11comp_targetILNS1_3genE0ELNS1_11target_archE4294967295ELNS1_3gpuE0ELNS1_3repE0EEENS1_30default_config_static_selectorELNS0_4arch9wavefront6targetE1EEEvSP_
    .private_segment_fixed_size: 0
    .sgpr_count:     30
    .sgpr_spill_count: 0
    .symbol:         _ZN7rocprim17ROCPRIM_400000_NS6detail17trampoline_kernelINS0_14default_configENS1_21merge_config_selectorIiNS0_10empty_typeEEEZNS1_10merge_implIS3_N6thrust23THRUST_200600_302600_NS6detail15normal_iteratorINS9_10device_ptrIKiEEEESF_NSB_INSC_IiEEEEPS5_SI_SI_NS9_4lessIiEEEE10hipError_tPvRmT0_T1_T2_T3_T4_T5_mmT6_P12ihipStream_tbEUlT_E0_NS1_11comp_targetILNS1_3genE0ELNS1_11target_archE4294967295ELNS1_3gpuE0ELNS1_3repE0EEENS1_30default_config_static_selectorELNS0_4arch9wavefront6targetE1EEEvSP_.kd
    .uniform_work_group_size: 1
    .uses_dynamic_stack: false
    .vgpr_count:     35
    .vgpr_spill_count: 0
    .wavefront_size: 64
  - .agpr_count:     0
    .args:
      - .offset:         0
        .size:           88
        .value_kind:     by_value
    .group_segment_fixed_size: 0
    .kernarg_segment_align: 8
    .kernarg_segment_size: 88
    .language:       OpenCL C
    .language_version:
      - 2
      - 0
    .max_flat_workgroup_size: 256
    .name:           _ZN7rocprim17ROCPRIM_400000_NS6detail17trampoline_kernelINS0_14default_configENS1_21merge_config_selectorIiNS0_10empty_typeEEEZNS1_10merge_implIS3_N6thrust23THRUST_200600_302600_NS6detail15normal_iteratorINS9_10device_ptrIKiEEEESF_NSB_INSC_IiEEEEPS5_SI_SI_NS9_4lessIiEEEE10hipError_tPvRmT0_T1_T2_T3_T4_T5_mmT6_P12ihipStream_tbEUlT_E0_NS1_11comp_targetILNS1_3genE5ELNS1_11target_archE942ELNS1_3gpuE9ELNS1_3repE0EEENS1_30default_config_static_selectorELNS0_4arch9wavefront6targetE1EEEvSP_
    .private_segment_fixed_size: 0
    .sgpr_count:     6
    .sgpr_spill_count: 0
    .symbol:         _ZN7rocprim17ROCPRIM_400000_NS6detail17trampoline_kernelINS0_14default_configENS1_21merge_config_selectorIiNS0_10empty_typeEEEZNS1_10merge_implIS3_N6thrust23THRUST_200600_302600_NS6detail15normal_iteratorINS9_10device_ptrIKiEEEESF_NSB_INSC_IiEEEEPS5_SI_SI_NS9_4lessIiEEEE10hipError_tPvRmT0_T1_T2_T3_T4_T5_mmT6_P12ihipStream_tbEUlT_E0_NS1_11comp_targetILNS1_3genE5ELNS1_11target_archE942ELNS1_3gpuE9ELNS1_3repE0EEENS1_30default_config_static_selectorELNS0_4arch9wavefront6targetE1EEEvSP_.kd
    .uniform_work_group_size: 1
    .uses_dynamic_stack: false
    .vgpr_count:     0
    .vgpr_spill_count: 0
    .wavefront_size: 64
  - .agpr_count:     0
    .args:
      - .offset:         0
        .size:           88
        .value_kind:     by_value
    .group_segment_fixed_size: 0
    .kernarg_segment_align: 8
    .kernarg_segment_size: 88
    .language:       OpenCL C
    .language_version:
      - 2
      - 0
    .max_flat_workgroup_size: 256
    .name:           _ZN7rocprim17ROCPRIM_400000_NS6detail17trampoline_kernelINS0_14default_configENS1_21merge_config_selectorIiNS0_10empty_typeEEEZNS1_10merge_implIS3_N6thrust23THRUST_200600_302600_NS6detail15normal_iteratorINS9_10device_ptrIKiEEEESF_NSB_INSC_IiEEEEPS5_SI_SI_NS9_4lessIiEEEE10hipError_tPvRmT0_T1_T2_T3_T4_T5_mmT6_P12ihipStream_tbEUlT_E0_NS1_11comp_targetILNS1_3genE4ELNS1_11target_archE910ELNS1_3gpuE8ELNS1_3repE0EEENS1_30default_config_static_selectorELNS0_4arch9wavefront6targetE1EEEvSP_
    .private_segment_fixed_size: 0
    .sgpr_count:     6
    .sgpr_spill_count: 0
    .symbol:         _ZN7rocprim17ROCPRIM_400000_NS6detail17trampoline_kernelINS0_14default_configENS1_21merge_config_selectorIiNS0_10empty_typeEEEZNS1_10merge_implIS3_N6thrust23THRUST_200600_302600_NS6detail15normal_iteratorINS9_10device_ptrIKiEEEESF_NSB_INSC_IiEEEEPS5_SI_SI_NS9_4lessIiEEEE10hipError_tPvRmT0_T1_T2_T3_T4_T5_mmT6_P12ihipStream_tbEUlT_E0_NS1_11comp_targetILNS1_3genE4ELNS1_11target_archE910ELNS1_3gpuE8ELNS1_3repE0EEENS1_30default_config_static_selectorELNS0_4arch9wavefront6targetE1EEEvSP_.kd
    .uniform_work_group_size: 1
    .uses_dynamic_stack: false
    .vgpr_count:     0
    .vgpr_spill_count: 0
    .wavefront_size: 64
  - .agpr_count:     0
    .args:
      - .offset:         0
        .size:           88
        .value_kind:     by_value
    .group_segment_fixed_size: 0
    .kernarg_segment_align: 8
    .kernarg_segment_size: 88
    .language:       OpenCL C
    .language_version:
      - 2
      - 0
    .max_flat_workgroup_size: 256
    .name:           _ZN7rocprim17ROCPRIM_400000_NS6detail17trampoline_kernelINS0_14default_configENS1_21merge_config_selectorIiNS0_10empty_typeEEEZNS1_10merge_implIS3_N6thrust23THRUST_200600_302600_NS6detail15normal_iteratorINS9_10device_ptrIKiEEEESF_NSB_INSC_IiEEEEPS5_SI_SI_NS9_4lessIiEEEE10hipError_tPvRmT0_T1_T2_T3_T4_T5_mmT6_P12ihipStream_tbEUlT_E0_NS1_11comp_targetILNS1_3genE3ELNS1_11target_archE908ELNS1_3gpuE7ELNS1_3repE0EEENS1_30default_config_static_selectorELNS0_4arch9wavefront6targetE1EEEvSP_
    .private_segment_fixed_size: 0
    .sgpr_count:     6
    .sgpr_spill_count: 0
    .symbol:         _ZN7rocprim17ROCPRIM_400000_NS6detail17trampoline_kernelINS0_14default_configENS1_21merge_config_selectorIiNS0_10empty_typeEEEZNS1_10merge_implIS3_N6thrust23THRUST_200600_302600_NS6detail15normal_iteratorINS9_10device_ptrIKiEEEESF_NSB_INSC_IiEEEEPS5_SI_SI_NS9_4lessIiEEEE10hipError_tPvRmT0_T1_T2_T3_T4_T5_mmT6_P12ihipStream_tbEUlT_E0_NS1_11comp_targetILNS1_3genE3ELNS1_11target_archE908ELNS1_3gpuE7ELNS1_3repE0EEENS1_30default_config_static_selectorELNS0_4arch9wavefront6targetE1EEEvSP_.kd
    .uniform_work_group_size: 1
    .uses_dynamic_stack: false
    .vgpr_count:     0
    .vgpr_spill_count: 0
    .wavefront_size: 64
  - .agpr_count:     0
    .args:
      - .offset:         0
        .size:           88
        .value_kind:     by_value
    .group_segment_fixed_size: 0
    .kernarg_segment_align: 8
    .kernarg_segment_size: 88
    .language:       OpenCL C
    .language_version:
      - 2
      - 0
    .max_flat_workgroup_size: 256
    .name:           _ZN7rocprim17ROCPRIM_400000_NS6detail17trampoline_kernelINS0_14default_configENS1_21merge_config_selectorIiNS0_10empty_typeEEEZNS1_10merge_implIS3_N6thrust23THRUST_200600_302600_NS6detail15normal_iteratorINS9_10device_ptrIKiEEEESF_NSB_INSC_IiEEEEPS5_SI_SI_NS9_4lessIiEEEE10hipError_tPvRmT0_T1_T2_T3_T4_T5_mmT6_P12ihipStream_tbEUlT_E0_NS1_11comp_targetILNS1_3genE2ELNS1_11target_archE906ELNS1_3gpuE6ELNS1_3repE0EEENS1_30default_config_static_selectorELNS0_4arch9wavefront6targetE1EEEvSP_
    .private_segment_fixed_size: 0
    .sgpr_count:     6
    .sgpr_spill_count: 0
    .symbol:         _ZN7rocprim17ROCPRIM_400000_NS6detail17trampoline_kernelINS0_14default_configENS1_21merge_config_selectorIiNS0_10empty_typeEEEZNS1_10merge_implIS3_N6thrust23THRUST_200600_302600_NS6detail15normal_iteratorINS9_10device_ptrIKiEEEESF_NSB_INSC_IiEEEEPS5_SI_SI_NS9_4lessIiEEEE10hipError_tPvRmT0_T1_T2_T3_T4_T5_mmT6_P12ihipStream_tbEUlT_E0_NS1_11comp_targetILNS1_3genE2ELNS1_11target_archE906ELNS1_3gpuE6ELNS1_3repE0EEENS1_30default_config_static_selectorELNS0_4arch9wavefront6targetE1EEEvSP_.kd
    .uniform_work_group_size: 1
    .uses_dynamic_stack: false
    .vgpr_count:     0
    .vgpr_spill_count: 0
    .wavefront_size: 64
  - .agpr_count:     0
    .args:
      - .offset:         0
        .size:           88
        .value_kind:     by_value
    .group_segment_fixed_size: 0
    .kernarg_segment_align: 8
    .kernarg_segment_size: 88
    .language:       OpenCL C
    .language_version:
      - 2
      - 0
    .max_flat_workgroup_size: 1024
    .name:           _ZN7rocprim17ROCPRIM_400000_NS6detail17trampoline_kernelINS0_14default_configENS1_21merge_config_selectorIiNS0_10empty_typeEEEZNS1_10merge_implIS3_N6thrust23THRUST_200600_302600_NS6detail15normal_iteratorINS9_10device_ptrIKiEEEESF_NSB_INSC_IiEEEEPS5_SI_SI_NS9_4lessIiEEEE10hipError_tPvRmT0_T1_T2_T3_T4_T5_mmT6_P12ihipStream_tbEUlT_E0_NS1_11comp_targetILNS1_3genE10ELNS1_11target_archE1201ELNS1_3gpuE5ELNS1_3repE0EEENS1_30default_config_static_selectorELNS0_4arch9wavefront6targetE1EEEvSP_
    .private_segment_fixed_size: 0
    .sgpr_count:     6
    .sgpr_spill_count: 0
    .symbol:         _ZN7rocprim17ROCPRIM_400000_NS6detail17trampoline_kernelINS0_14default_configENS1_21merge_config_selectorIiNS0_10empty_typeEEEZNS1_10merge_implIS3_N6thrust23THRUST_200600_302600_NS6detail15normal_iteratorINS9_10device_ptrIKiEEEESF_NSB_INSC_IiEEEEPS5_SI_SI_NS9_4lessIiEEEE10hipError_tPvRmT0_T1_T2_T3_T4_T5_mmT6_P12ihipStream_tbEUlT_E0_NS1_11comp_targetILNS1_3genE10ELNS1_11target_archE1201ELNS1_3gpuE5ELNS1_3repE0EEENS1_30default_config_static_selectorELNS0_4arch9wavefront6targetE1EEEvSP_.kd
    .uniform_work_group_size: 1
    .uses_dynamic_stack: false
    .vgpr_count:     0
    .vgpr_spill_count: 0
    .wavefront_size: 64
  - .agpr_count:     0
    .args:
      - .offset:         0
        .size:           88
        .value_kind:     by_value
    .group_segment_fixed_size: 0
    .kernarg_segment_align: 8
    .kernarg_segment_size: 88
    .language:       OpenCL C
    .language_version:
      - 2
      - 0
    .max_flat_workgroup_size: 1024
    .name:           _ZN7rocprim17ROCPRIM_400000_NS6detail17trampoline_kernelINS0_14default_configENS1_21merge_config_selectorIiNS0_10empty_typeEEEZNS1_10merge_implIS3_N6thrust23THRUST_200600_302600_NS6detail15normal_iteratorINS9_10device_ptrIKiEEEESF_NSB_INSC_IiEEEEPS5_SI_SI_NS9_4lessIiEEEE10hipError_tPvRmT0_T1_T2_T3_T4_T5_mmT6_P12ihipStream_tbEUlT_E0_NS1_11comp_targetILNS1_3genE10ELNS1_11target_archE1200ELNS1_3gpuE4ELNS1_3repE0EEENS1_30default_config_static_selectorELNS0_4arch9wavefront6targetE1EEEvSP_
    .private_segment_fixed_size: 0
    .sgpr_count:     6
    .sgpr_spill_count: 0
    .symbol:         _ZN7rocprim17ROCPRIM_400000_NS6detail17trampoline_kernelINS0_14default_configENS1_21merge_config_selectorIiNS0_10empty_typeEEEZNS1_10merge_implIS3_N6thrust23THRUST_200600_302600_NS6detail15normal_iteratorINS9_10device_ptrIKiEEEESF_NSB_INSC_IiEEEEPS5_SI_SI_NS9_4lessIiEEEE10hipError_tPvRmT0_T1_T2_T3_T4_T5_mmT6_P12ihipStream_tbEUlT_E0_NS1_11comp_targetILNS1_3genE10ELNS1_11target_archE1200ELNS1_3gpuE4ELNS1_3repE0EEENS1_30default_config_static_selectorELNS0_4arch9wavefront6targetE1EEEvSP_.kd
    .uniform_work_group_size: 1
    .uses_dynamic_stack: false
    .vgpr_count:     0
    .vgpr_spill_count: 0
    .wavefront_size: 64
  - .agpr_count:     0
    .args:
      - .offset:         0
        .size:           88
        .value_kind:     by_value
    .group_segment_fixed_size: 0
    .kernarg_segment_align: 8
    .kernarg_segment_size: 88
    .language:       OpenCL C
    .language_version:
      - 2
      - 0
    .max_flat_workgroup_size: 1024
    .name:           _ZN7rocprim17ROCPRIM_400000_NS6detail17trampoline_kernelINS0_14default_configENS1_21merge_config_selectorIiNS0_10empty_typeEEEZNS1_10merge_implIS3_N6thrust23THRUST_200600_302600_NS6detail15normal_iteratorINS9_10device_ptrIKiEEEESF_NSB_INSC_IiEEEEPS5_SI_SI_NS9_4lessIiEEEE10hipError_tPvRmT0_T1_T2_T3_T4_T5_mmT6_P12ihipStream_tbEUlT_E0_NS1_11comp_targetILNS1_3genE9ELNS1_11target_archE1100ELNS1_3gpuE3ELNS1_3repE0EEENS1_30default_config_static_selectorELNS0_4arch9wavefront6targetE1EEEvSP_
    .private_segment_fixed_size: 0
    .sgpr_count:     6
    .sgpr_spill_count: 0
    .symbol:         _ZN7rocprim17ROCPRIM_400000_NS6detail17trampoline_kernelINS0_14default_configENS1_21merge_config_selectorIiNS0_10empty_typeEEEZNS1_10merge_implIS3_N6thrust23THRUST_200600_302600_NS6detail15normal_iteratorINS9_10device_ptrIKiEEEESF_NSB_INSC_IiEEEEPS5_SI_SI_NS9_4lessIiEEEE10hipError_tPvRmT0_T1_T2_T3_T4_T5_mmT6_P12ihipStream_tbEUlT_E0_NS1_11comp_targetILNS1_3genE9ELNS1_11target_archE1100ELNS1_3gpuE3ELNS1_3repE0EEENS1_30default_config_static_selectorELNS0_4arch9wavefront6targetE1EEEvSP_.kd
    .uniform_work_group_size: 1
    .uses_dynamic_stack: false
    .vgpr_count:     0
    .vgpr_spill_count: 0
    .wavefront_size: 64
  - .agpr_count:     0
    .args:
      - .offset:         0
        .size:           88
        .value_kind:     by_value
    .group_segment_fixed_size: 0
    .kernarg_segment_align: 8
    .kernarg_segment_size: 88
    .language:       OpenCL C
    .language_version:
      - 2
      - 0
    .max_flat_workgroup_size: 1024
    .name:           _ZN7rocprim17ROCPRIM_400000_NS6detail17trampoline_kernelINS0_14default_configENS1_21merge_config_selectorIiNS0_10empty_typeEEEZNS1_10merge_implIS3_N6thrust23THRUST_200600_302600_NS6detail15normal_iteratorINS9_10device_ptrIKiEEEESF_NSB_INSC_IiEEEEPS5_SI_SI_NS9_4lessIiEEEE10hipError_tPvRmT0_T1_T2_T3_T4_T5_mmT6_P12ihipStream_tbEUlT_E0_NS1_11comp_targetILNS1_3genE8ELNS1_11target_archE1030ELNS1_3gpuE2ELNS1_3repE0EEENS1_30default_config_static_selectorELNS0_4arch9wavefront6targetE1EEEvSP_
    .private_segment_fixed_size: 0
    .sgpr_count:     6
    .sgpr_spill_count: 0
    .symbol:         _ZN7rocprim17ROCPRIM_400000_NS6detail17trampoline_kernelINS0_14default_configENS1_21merge_config_selectorIiNS0_10empty_typeEEEZNS1_10merge_implIS3_N6thrust23THRUST_200600_302600_NS6detail15normal_iteratorINS9_10device_ptrIKiEEEESF_NSB_INSC_IiEEEEPS5_SI_SI_NS9_4lessIiEEEE10hipError_tPvRmT0_T1_T2_T3_T4_T5_mmT6_P12ihipStream_tbEUlT_E0_NS1_11comp_targetILNS1_3genE8ELNS1_11target_archE1030ELNS1_3gpuE2ELNS1_3repE0EEENS1_30default_config_static_selectorELNS0_4arch9wavefront6targetE1EEEvSP_.kd
    .uniform_work_group_size: 1
    .uses_dynamic_stack: false
    .vgpr_count:     0
    .vgpr_spill_count: 0
    .wavefront_size: 64
  - .agpr_count:     0
    .args:
      - .address_space:  global
        .offset:         0
        .size:           8
        .value_kind:     global_buffer
      - .offset:         8
        .size:           4
        .value_kind:     by_value
      - .address_space:  global
        .offset:         16
        .size:           8
        .value_kind:     global_buffer
      - .offset:         24
        .size:           4
        .value_kind:     by_value
      - .address_space:  global
        .offset:         32
        .size:           8
        .value_kind:     global_buffer
      - .offset:         40
        .size:           4
        .value_kind:     hidden_block_count_x
      - .offset:         44
        .size:           4
        .value_kind:     hidden_block_count_y
      - .offset:         48
        .size:           4
        .value_kind:     hidden_block_count_z
      - .offset:         52
        .size:           2
        .value_kind:     hidden_group_size_x
      - .offset:         54
        .size:           2
        .value_kind:     hidden_group_size_y
      - .offset:         56
        .size:           2
        .value_kind:     hidden_group_size_z
      - .offset:         58
        .size:           2
        .value_kind:     hidden_remainder_x
      - .offset:         60
        .size:           2
        .value_kind:     hidden_remainder_y
      - .offset:         62
        .size:           2
        .value_kind:     hidden_remainder_z
      - .offset:         80
        .size:           8
        .value_kind:     hidden_global_offset_x
      - .offset:         88
        .size:           8
        .value_kind:     hidden_global_offset_y
      - .offset:         96
        .size:           8
        .value_kind:     hidden_global_offset_z
      - .offset:         104
        .size:           2
        .value_kind:     hidden_grid_dims
    .group_segment_fixed_size: 0
    .kernarg_segment_align: 8
    .kernarg_segment_size: 296
    .language:       OpenCL C
    .language_version:
      - 2
      - 0
    .max_flat_workgroup_size: 256
    .name:           _ZN7rocprim17ROCPRIM_400000_NS6detail31init_lookback_scan_state_kernelINS1_19lookback_scan_stateIlLb0ELb1EEENS1_16ordered_block_idIjEEEEvT_jT0_jPNS7_10value_typeE
    .private_segment_fixed_size: 0
    .sgpr_count:     21
    .sgpr_spill_count: 0
    .symbol:         _ZN7rocprim17ROCPRIM_400000_NS6detail31init_lookback_scan_state_kernelINS1_19lookback_scan_stateIlLb0ELb1EEENS1_16ordered_block_idIjEEEEvT_jT0_jPNS7_10value_typeE.kd
    .uniform_work_group_size: 1
    .uses_dynamic_stack: false
    .vgpr_count:     10
    .vgpr_spill_count: 0
    .wavefront_size: 64
  - .agpr_count:     0
    .args:
      - .offset:         0
        .size:           48
        .value_kind:     by_value
      - .offset:         48
        .size:           4
        .value_kind:     by_value
      - .offset:         52
        .size:           4
        .value_kind:     by_value
    .group_segment_fixed_size: 0
    .kernarg_segment_align: 8
    .kernarg_segment_size: 56
    .language:       OpenCL C
    .language_version:
      - 2
      - 0
    .max_flat_workgroup_size: 256
    .name:           _ZN6thrust23THRUST_200600_302600_NS11hip_rocprim14__parallel_for6kernelILj256EZNS1_16__set_operations9doit_stepILb0ENS0_6detail15normal_iteratorINS0_10device_ptrIKiEEEESB_PiSC_lNS7_INS8_IiEEEESC_NS0_4lessIiEENS4_16serial_set_unionEEE10hipError_tPvRmT0_T1_T2_T3_T4_SP_T5_T6_PSP_T7_T8_P12ihipStream_tbEUllE_jLj1EEEvSL_SM_SM_
    .private_segment_fixed_size: 0
    .sgpr_count:     26
    .sgpr_spill_count: 0
    .symbol:         _ZN6thrust23THRUST_200600_302600_NS11hip_rocprim14__parallel_for6kernelILj256EZNS1_16__set_operations9doit_stepILb0ENS0_6detail15normal_iteratorINS0_10device_ptrIKiEEEESB_PiSC_lNS7_INS8_IiEEEESC_NS0_4lessIiEENS4_16serial_set_unionEEE10hipError_tPvRmT0_T1_T2_T3_T4_SP_T5_T6_PSP_T7_T8_P12ihipStream_tbEUllE_jLj1EEEvSL_SM_SM_.kd
    .uniform_work_group_size: 1
    .uses_dynamic_stack: false
    .vgpr_count:     25
    .vgpr_spill_count: 0
    .wavefront_size: 64
  - .agpr_count:     0
    .args:
      - .address_space:  global
        .offset:         0
        .size:           8
        .value_kind:     global_buffer
      - .address_space:  global
        .offset:         8
        .size:           8
        .value_kind:     global_buffer
      - .address_space:  global
        .offset:         16
        .size:           8
        .value_kind:     global_buffer
      - .address_space:  global
        .offset:         24
        .size:           8
        .value_kind:     global_buffer
      - .address_space:  global
        .offset:         32
        .size:           8
        .value_kind:     global_buffer
      - .address_space:  global
        .offset:         40
        .size:           8
        .value_kind:     global_buffer
      - .offset:         48
        .size:           1
        .value_kind:     by_value
      - .offset:         49
        .size:           1
        .value_kind:     by_value
      - .address_space:  global
        .offset:         56
        .size:           8
        .value_kind:     global_buffer
      - .address_space:  global
        .offset:         64
        .size:           8
        .value_kind:     global_buffer
      - .address_space:  global
        .offset:         72
        .size:           8
        .value_kind:     global_buffer
      - .address_space:  global
        .offset:         80
        .size:           8
        .value_kind:     global_buffer
      - .offset:         88
        .size:           4
        .value_kind:     hidden_block_count_x
      - .offset:         92
        .size:           4
        .value_kind:     hidden_block_count_y
      - .offset:         96
        .size:           4
        .value_kind:     hidden_block_count_z
      - .offset:         100
        .size:           2
        .value_kind:     hidden_group_size_x
      - .offset:         102
        .size:           2
        .value_kind:     hidden_group_size_y
      - .offset:         104
        .size:           2
        .value_kind:     hidden_group_size_z
      - .offset:         106
        .size:           2
        .value_kind:     hidden_remainder_x
      - .offset:         108
        .size:           2
        .value_kind:     hidden_remainder_y
      - .offset:         110
        .size:           2
        .value_kind:     hidden_remainder_z
      - .offset:         128
        .size:           8
        .value_kind:     hidden_global_offset_x
      - .offset:         136
        .size:           8
        .value_kind:     hidden_global_offset_y
      - .offset:         144
        .size:           8
        .value_kind:     hidden_global_offset_z
      - .offset:         152
        .size:           2
        .value_kind:     hidden_grid_dims
    .group_segment_fixed_size: 36868
    .kernarg_segment_align: 8
    .kernarg_segment_size: 344
    .language:       OpenCL C
    .language_version:
      - 2
      - 0
    .max_flat_workgroup_size: 256
    .name:           _ZN6thrust23THRUST_200600_302600_NS11hip_rocprim16__set_operations22lookback_set_op_kernelIN7rocprim17ROCPRIM_400000_NS13kernel_configILj256ELj16ELj4294967295EEELb0ENS0_6detail15normal_iteratorINS0_10device_ptrIKiEEEESD_PiSE_lNS9_INSA_IiEEEESE_NS0_4lessIiEENS2_16serial_set_unionENS5_6detail19lookback_scan_stateIlLb0ELb1EEEEEvT1_T2_T3_T4_T6_T7_T8_T9_PNS0_4pairIT5_SW_EEPSW_T10_NSK_16ordered_block_idIjEE
    .private_segment_fixed_size: 0
    .sgpr_count:     70
    .sgpr_spill_count: 0
    .symbol:         _ZN6thrust23THRUST_200600_302600_NS11hip_rocprim16__set_operations22lookback_set_op_kernelIN7rocprim17ROCPRIM_400000_NS13kernel_configILj256ELj16ELj4294967295EEELb0ENS0_6detail15normal_iteratorINS0_10device_ptrIKiEEEESD_PiSE_lNS9_INSA_IiEEEESE_NS0_4lessIiEENS2_16serial_set_unionENS5_6detail19lookback_scan_stateIlLb0ELb1EEEEEvT1_T2_T3_T4_T6_T7_T8_T9_PNS0_4pairIT5_SW_EEPSW_T10_NSK_16ordered_block_idIjEE.kd
    .uniform_work_group_size: 1
    .uses_dynamic_stack: false
    .vgpr_count:     86
    .vgpr_spill_count: 0
    .wavefront_size: 64
  - .agpr_count:     0
    .args:
      - .offset:         0
        .size:           48
        .value_kind:     by_value
      - .offset:         48
        .size:           4
        .value_kind:     by_value
      - .offset:         52
        .size:           4
        .value_kind:     by_value
    .group_segment_fixed_size: 0
    .kernarg_segment_align: 8
    .kernarg_segment_size: 56
    .language:       OpenCL C
    .language_version:
      - 2
      - 0
    .max_flat_workgroup_size: 256
    .name:           _ZN6thrust23THRUST_200600_302600_NS11hip_rocprim14__parallel_for6kernelILj256EZNS1_16__set_operations9doit_stepILb0ENS0_6detail15normal_iteratorINS0_10device_ptrIKiEEEESB_PiSC_lNS7_INS8_IiEEEESC_NS0_4lessIiEENS4_23serial_set_intersectionEEE10hipError_tPvRmT0_T1_T2_T3_T4_SP_T5_T6_PSP_T7_T8_P12ihipStream_tbEUllE_jLj1EEEvSL_SM_SM_
    .private_segment_fixed_size: 0
    .sgpr_count:     26
    .sgpr_spill_count: 0
    .symbol:         _ZN6thrust23THRUST_200600_302600_NS11hip_rocprim14__parallel_for6kernelILj256EZNS1_16__set_operations9doit_stepILb0ENS0_6detail15normal_iteratorINS0_10device_ptrIKiEEEESB_PiSC_lNS7_INS8_IiEEEESC_NS0_4lessIiEENS4_23serial_set_intersectionEEE10hipError_tPvRmT0_T1_T2_T3_T4_SP_T5_T6_PSP_T7_T8_P12ihipStream_tbEUllE_jLj1EEEvSL_SM_SM_.kd
    .uniform_work_group_size: 1
    .uses_dynamic_stack: false
    .vgpr_count:     25
    .vgpr_spill_count: 0
    .wavefront_size: 64
  - .agpr_count:     0
    .args:
      - .address_space:  global
        .offset:         0
        .size:           8
        .value_kind:     global_buffer
      - .address_space:  global
        .offset:         8
        .size:           8
        .value_kind:     global_buffer
      - .address_space:  global
        .offset:         16
        .size:           8
        .value_kind:     global_buffer
      - .address_space:  global
        .offset:         24
        .size:           8
        .value_kind:     global_buffer
      - .address_space:  global
        .offset:         32
        .size:           8
        .value_kind:     global_buffer
      - .address_space:  global
        .offset:         40
        .size:           8
        .value_kind:     global_buffer
      - .offset:         48
        .size:           1
        .value_kind:     by_value
      - .offset:         49
        .size:           1
        .value_kind:     by_value
      - .address_space:  global
        .offset:         56
        .size:           8
        .value_kind:     global_buffer
      - .address_space:  global
        .offset:         64
        .size:           8
        .value_kind:     global_buffer
      - .address_space:  global
        .offset:         72
        .size:           8
        .value_kind:     global_buffer
      - .address_space:  global
        .offset:         80
        .size:           8
        .value_kind:     global_buffer
      - .offset:         88
        .size:           4
        .value_kind:     hidden_block_count_x
      - .offset:         92
        .size:           4
        .value_kind:     hidden_block_count_y
      - .offset:         96
        .size:           4
        .value_kind:     hidden_block_count_z
      - .offset:         100
        .size:           2
        .value_kind:     hidden_group_size_x
      - .offset:         102
        .size:           2
        .value_kind:     hidden_group_size_y
      - .offset:         104
        .size:           2
        .value_kind:     hidden_group_size_z
      - .offset:         106
        .size:           2
        .value_kind:     hidden_remainder_x
      - .offset:         108
        .size:           2
        .value_kind:     hidden_remainder_y
      - .offset:         110
        .size:           2
        .value_kind:     hidden_remainder_z
      - .offset:         128
        .size:           8
        .value_kind:     hidden_global_offset_x
      - .offset:         136
        .size:           8
        .value_kind:     hidden_global_offset_y
      - .offset:         144
        .size:           8
        .value_kind:     hidden_global_offset_z
      - .offset:         152
        .size:           2
        .value_kind:     hidden_grid_dims
    .group_segment_fixed_size: 36868
    .kernarg_segment_align: 8
    .kernarg_segment_size: 344
    .language:       OpenCL C
    .language_version:
      - 2
      - 0
    .max_flat_workgroup_size: 256
    .name:           _ZN6thrust23THRUST_200600_302600_NS11hip_rocprim16__set_operations22lookback_set_op_kernelIN7rocprim17ROCPRIM_400000_NS13kernel_configILj256ELj16ELj4294967295EEELb0ENS0_6detail15normal_iteratorINS0_10device_ptrIKiEEEESD_PiSE_lNS9_INSA_IiEEEESE_NS0_4lessIiEENS2_23serial_set_intersectionENS5_6detail19lookback_scan_stateIlLb0ELb1EEEEEvT1_T2_T3_T4_T6_T7_T8_T9_PNS0_4pairIT5_SW_EEPSW_T10_NSK_16ordered_block_idIjEE
    .private_segment_fixed_size: 0
    .sgpr_count:     38
    .sgpr_spill_count: 0
    .symbol:         _ZN6thrust23THRUST_200600_302600_NS11hip_rocprim16__set_operations22lookback_set_op_kernelIN7rocprim17ROCPRIM_400000_NS13kernel_configILj256ELj16ELj4294967295EEELb0ENS0_6detail15normal_iteratorINS0_10device_ptrIKiEEEESD_PiSE_lNS9_INSA_IiEEEESE_NS0_4lessIiEENS2_23serial_set_intersectionENS5_6detail19lookback_scan_stateIlLb0ELb1EEEEEvT1_T2_T3_T4_T6_T7_T8_T9_PNS0_4pairIT5_SW_EEPSW_T10_NSK_16ordered_block_idIjEE.kd
    .uniform_work_group_size: 1
    .uses_dynamic_stack: false
    .vgpr_count:     73
    .vgpr_spill_count: 0
    .wavefront_size: 64
  - .agpr_count:     0
    .args:
      - .offset:         0
        .size:           48
        .value_kind:     by_value
      - .offset:         48
        .size:           4
        .value_kind:     by_value
      - .offset:         52
        .size:           4
        .value_kind:     by_value
    .group_segment_fixed_size: 0
    .kernarg_segment_align: 8
    .kernarg_segment_size: 56
    .language:       OpenCL C
    .language_version:
      - 2
      - 0
    .max_flat_workgroup_size: 256
    .name:           _ZN6thrust23THRUST_200600_302600_NS11hip_rocprim14__parallel_for6kernelILj256EZNS1_16__set_operations9doit_stepILb0ENS0_6detail15normal_iteratorINS0_10device_ptrIKiEEEESB_PiSC_lNS7_INS8_IiEEEESC_NS0_4lessIiEENS4_21serial_set_differenceEEE10hipError_tPvRmT0_T1_T2_T3_T4_SP_T5_T6_PSP_T7_T8_P12ihipStream_tbEUllE_jLj1EEEvSL_SM_SM_
    .private_segment_fixed_size: 0
    .sgpr_count:     26
    .sgpr_spill_count: 0
    .symbol:         _ZN6thrust23THRUST_200600_302600_NS11hip_rocprim14__parallel_for6kernelILj256EZNS1_16__set_operations9doit_stepILb0ENS0_6detail15normal_iteratorINS0_10device_ptrIKiEEEESB_PiSC_lNS7_INS8_IiEEEESC_NS0_4lessIiEENS4_21serial_set_differenceEEE10hipError_tPvRmT0_T1_T2_T3_T4_SP_T5_T6_PSP_T7_T8_P12ihipStream_tbEUllE_jLj1EEEvSL_SM_SM_.kd
    .uniform_work_group_size: 1
    .uses_dynamic_stack: false
    .vgpr_count:     25
    .vgpr_spill_count: 0
    .wavefront_size: 64
  - .agpr_count:     0
    .args:
      - .address_space:  global
        .offset:         0
        .size:           8
        .value_kind:     global_buffer
      - .address_space:  global
        .offset:         8
        .size:           8
        .value_kind:     global_buffer
      - .address_space:  global
        .offset:         16
        .size:           8
        .value_kind:     global_buffer
      - .address_space:  global
        .offset:         24
        .size:           8
        .value_kind:     global_buffer
      - .address_space:  global
        .offset:         32
        .size:           8
        .value_kind:     global_buffer
      - .address_space:  global
        .offset:         40
        .size:           8
        .value_kind:     global_buffer
      - .offset:         48
        .size:           1
        .value_kind:     by_value
      - .offset:         49
        .size:           1
        .value_kind:     by_value
      - .address_space:  global
        .offset:         56
        .size:           8
        .value_kind:     global_buffer
      - .address_space:  global
        .offset:         64
        .size:           8
        .value_kind:     global_buffer
      - .address_space:  global
        .offset:         72
        .size:           8
        .value_kind:     global_buffer
      - .address_space:  global
        .offset:         80
        .size:           8
        .value_kind:     global_buffer
      - .offset:         88
        .size:           4
        .value_kind:     hidden_block_count_x
      - .offset:         92
        .size:           4
        .value_kind:     hidden_block_count_y
      - .offset:         96
        .size:           4
        .value_kind:     hidden_block_count_z
      - .offset:         100
        .size:           2
        .value_kind:     hidden_group_size_x
      - .offset:         102
        .size:           2
        .value_kind:     hidden_group_size_y
      - .offset:         104
        .size:           2
        .value_kind:     hidden_group_size_z
      - .offset:         106
        .size:           2
        .value_kind:     hidden_remainder_x
      - .offset:         108
        .size:           2
        .value_kind:     hidden_remainder_y
      - .offset:         110
        .size:           2
        .value_kind:     hidden_remainder_z
      - .offset:         128
        .size:           8
        .value_kind:     hidden_global_offset_x
      - .offset:         136
        .size:           8
        .value_kind:     hidden_global_offset_y
      - .offset:         144
        .size:           8
        .value_kind:     hidden_global_offset_z
      - .offset:         152
        .size:           2
        .value_kind:     hidden_grid_dims
    .group_segment_fixed_size: 36868
    .kernarg_segment_align: 8
    .kernarg_segment_size: 344
    .language:       OpenCL C
    .language_version:
      - 2
      - 0
    .max_flat_workgroup_size: 256
    .name:           _ZN6thrust23THRUST_200600_302600_NS11hip_rocprim16__set_operations22lookback_set_op_kernelIN7rocprim17ROCPRIM_400000_NS13kernel_configILj256ELj16ELj4294967295EEELb0ENS0_6detail15normal_iteratorINS0_10device_ptrIKiEEEESD_PiSE_lNS9_INSA_IiEEEESE_NS0_4lessIiEENS2_21serial_set_differenceENS5_6detail19lookback_scan_stateIlLb0ELb1EEEEEvT1_T2_T3_T4_T6_T7_T8_T9_PNS0_4pairIT5_SW_EEPSW_T10_NSK_16ordered_block_idIjEE
    .private_segment_fixed_size: 0
    .sgpr_count:     52
    .sgpr_spill_count: 0
    .symbol:         _ZN6thrust23THRUST_200600_302600_NS11hip_rocprim16__set_operations22lookback_set_op_kernelIN7rocprim17ROCPRIM_400000_NS13kernel_configILj256ELj16ELj4294967295EEELb0ENS0_6detail15normal_iteratorINS0_10device_ptrIKiEEEESD_PiSE_lNS9_INSA_IiEEEESE_NS0_4lessIiEENS2_21serial_set_differenceENS5_6detail19lookback_scan_stateIlLb0ELb1EEEEEvT1_T2_T3_T4_T6_T7_T8_T9_PNS0_4pairIT5_SW_EEPSW_T10_NSK_16ordered_block_idIjEE.kd
    .uniform_work_group_size: 1
    .uses_dynamic_stack: false
    .vgpr_count:     66
    .vgpr_spill_count: 0
    .wavefront_size: 64
  - .agpr_count:     0
    .args:
      - .offset:         0
        .size:           48
        .value_kind:     by_value
      - .offset:         48
        .size:           4
        .value_kind:     by_value
      - .offset:         52
        .size:           4
        .value_kind:     by_value
    .group_segment_fixed_size: 0
    .kernarg_segment_align: 8
    .kernarg_segment_size: 56
    .language:       OpenCL C
    .language_version:
      - 2
      - 0
    .max_flat_workgroup_size: 256
    .name:           _ZN6thrust23THRUST_200600_302600_NS11hip_rocprim14__parallel_for6kernelILj256EZNS1_16__set_operations9doit_stepILb0ENS0_6detail15normal_iteratorINS0_10device_ptrIKiEEEESB_PiSC_lNS7_INS8_IiEEEESC_NS0_4lessIiEENS4_31serial_set_symmetric_differenceEEE10hipError_tPvRmT0_T1_T2_T3_T4_SP_T5_T6_PSP_T7_T8_P12ihipStream_tbEUllE_jLj1EEEvSL_SM_SM_
    .private_segment_fixed_size: 0
    .sgpr_count:     26
    .sgpr_spill_count: 0
    .symbol:         _ZN6thrust23THRUST_200600_302600_NS11hip_rocprim14__parallel_for6kernelILj256EZNS1_16__set_operations9doit_stepILb0ENS0_6detail15normal_iteratorINS0_10device_ptrIKiEEEESB_PiSC_lNS7_INS8_IiEEEESC_NS0_4lessIiEENS4_31serial_set_symmetric_differenceEEE10hipError_tPvRmT0_T1_T2_T3_T4_SP_T5_T6_PSP_T7_T8_P12ihipStream_tbEUllE_jLj1EEEvSL_SM_SM_.kd
    .uniform_work_group_size: 1
    .uses_dynamic_stack: false
    .vgpr_count:     25
    .vgpr_spill_count: 0
    .wavefront_size: 64
  - .agpr_count:     0
    .args:
      - .address_space:  global
        .offset:         0
        .size:           8
        .value_kind:     global_buffer
      - .address_space:  global
        .offset:         8
        .size:           8
        .value_kind:     global_buffer
      - .address_space:  global
        .offset:         16
        .size:           8
        .value_kind:     global_buffer
      - .address_space:  global
        .offset:         24
        .size:           8
        .value_kind:     global_buffer
      - .address_space:  global
        .offset:         32
        .size:           8
        .value_kind:     global_buffer
      - .address_space:  global
        .offset:         40
        .size:           8
        .value_kind:     global_buffer
      - .offset:         48
        .size:           1
        .value_kind:     by_value
      - .offset:         49
        .size:           1
        .value_kind:     by_value
      - .address_space:  global
        .offset:         56
        .size:           8
        .value_kind:     global_buffer
      - .address_space:  global
        .offset:         64
        .size:           8
        .value_kind:     global_buffer
      - .address_space:  global
        .offset:         72
        .size:           8
        .value_kind:     global_buffer
      - .address_space:  global
        .offset:         80
        .size:           8
        .value_kind:     global_buffer
      - .offset:         88
        .size:           4
        .value_kind:     hidden_block_count_x
      - .offset:         92
        .size:           4
        .value_kind:     hidden_block_count_y
      - .offset:         96
        .size:           4
        .value_kind:     hidden_block_count_z
      - .offset:         100
        .size:           2
        .value_kind:     hidden_group_size_x
      - .offset:         102
        .size:           2
        .value_kind:     hidden_group_size_y
      - .offset:         104
        .size:           2
        .value_kind:     hidden_group_size_z
      - .offset:         106
        .size:           2
        .value_kind:     hidden_remainder_x
      - .offset:         108
        .size:           2
        .value_kind:     hidden_remainder_y
      - .offset:         110
        .size:           2
        .value_kind:     hidden_remainder_z
      - .offset:         128
        .size:           8
        .value_kind:     hidden_global_offset_x
      - .offset:         136
        .size:           8
        .value_kind:     hidden_global_offset_y
      - .offset:         144
        .size:           8
        .value_kind:     hidden_global_offset_z
      - .offset:         152
        .size:           2
        .value_kind:     hidden_grid_dims
    .group_segment_fixed_size: 36868
    .kernarg_segment_align: 8
    .kernarg_segment_size: 344
    .language:       OpenCL C
    .language_version:
      - 2
      - 0
    .max_flat_workgroup_size: 256
    .name:           _ZN6thrust23THRUST_200600_302600_NS11hip_rocprim16__set_operations22lookback_set_op_kernelIN7rocprim17ROCPRIM_400000_NS13kernel_configILj256ELj16ELj4294967295EEELb0ENS0_6detail15normal_iteratorINS0_10device_ptrIKiEEEESD_PiSE_lNS9_INSA_IiEEEESE_NS0_4lessIiEENS2_31serial_set_symmetric_differenceENS5_6detail19lookback_scan_stateIlLb0ELb1EEEEEvT1_T2_T3_T4_T6_T7_T8_T9_PNS0_4pairIT5_SW_EEPSW_T10_NSK_16ordered_block_idIjEE
    .private_segment_fixed_size: 0
    .sgpr_count:     86
    .sgpr_spill_count: 0
    .symbol:         _ZN6thrust23THRUST_200600_302600_NS11hip_rocprim16__set_operations22lookback_set_op_kernelIN7rocprim17ROCPRIM_400000_NS13kernel_configILj256ELj16ELj4294967295EEELb0ENS0_6detail15normal_iteratorINS0_10device_ptrIKiEEEESD_PiSE_lNS9_INSA_IiEEEESE_NS0_4lessIiEENS2_31serial_set_symmetric_differenceENS5_6detail19lookback_scan_stateIlLb0ELb1EEEEEvT1_T2_T3_T4_T6_T7_T8_T9_PNS0_4pairIT5_SW_EEPSW_T10_NSK_16ordered_block_idIjEE.kd
    .uniform_work_group_size: 1
    .uses_dynamic_stack: false
    .vgpr_count:     82
    .vgpr_spill_count: 0
    .wavefront_size: 64
  - .agpr_count:     0
    .args:
      - .offset:         0
        .size:           48
        .value_kind:     by_value
      - .offset:         48
        .size:           4
        .value_kind:     by_value
      - .offset:         52
        .size:           4
        .value_kind:     by_value
    .group_segment_fixed_size: 0
    .kernarg_segment_align: 8
    .kernarg_segment_size: 56
    .language:       OpenCL C
    .language_version:
      - 2
      - 0
    .max_flat_workgroup_size: 256
    .name:           _ZN6thrust23THRUST_200600_302600_NS11hip_rocprim14__parallel_for6kernelILj256EZNS1_16__set_operations9doit_stepILb0ENS0_6detail15normal_iteratorINS0_10device_ptrIKiEEEESB_PiSC_lNS0_16discard_iteratorINS0_11use_defaultEEESC_NS0_4lessIiEENS4_23serial_set_intersectionEEE10hipError_tPvRmT0_T1_T2_T3_T4_SQ_T5_T6_PSQ_T7_T8_P12ihipStream_tbEUllE_jLj1EEEvSM_SN_SN_
    .private_segment_fixed_size: 0
    .sgpr_count:     26
    .sgpr_spill_count: 0
    .symbol:         _ZN6thrust23THRUST_200600_302600_NS11hip_rocprim14__parallel_for6kernelILj256EZNS1_16__set_operations9doit_stepILb0ENS0_6detail15normal_iteratorINS0_10device_ptrIKiEEEESB_PiSC_lNS0_16discard_iteratorINS0_11use_defaultEEESC_NS0_4lessIiEENS4_23serial_set_intersectionEEE10hipError_tPvRmT0_T1_T2_T3_T4_SQ_T5_T6_PSQ_T7_T8_P12ihipStream_tbEUllE_jLj1EEEvSM_SN_SN_.kd
    .uniform_work_group_size: 1
    .uses_dynamic_stack: false
    .vgpr_count:     25
    .vgpr_spill_count: 0
    .wavefront_size: 64
  - .agpr_count:     0
    .args:
      - .address_space:  global
        .offset:         0
        .size:           8
        .value_kind:     global_buffer
      - .address_space:  global
        .offset:         8
        .size:           8
        .value_kind:     global_buffer
      - .address_space:  global
        .offset:         16
        .size:           8
        .value_kind:     global_buffer
      - .address_space:  global
        .offset:         24
        .size:           8
        .value_kind:     global_buffer
      - .offset:         32
        .size:           16
        .value_kind:     by_value
      - .address_space:  global
        .offset:         48
        .size:           8
        .value_kind:     global_buffer
      - .offset:         56
        .size:           1
        .value_kind:     by_value
      - .offset:         57
        .size:           1
        .value_kind:     by_value
      - .address_space:  global
        .offset:         64
        .size:           8
        .value_kind:     global_buffer
      - .address_space:  global
        .offset:         72
        .size:           8
        .value_kind:     global_buffer
      - .address_space:  global
        .offset:         80
        .size:           8
        .value_kind:     global_buffer
      - .address_space:  global
        .offset:         88
        .size:           8
        .value_kind:     global_buffer
      - .offset:         96
        .size:           4
        .value_kind:     hidden_block_count_x
      - .offset:         100
        .size:           4
        .value_kind:     hidden_block_count_y
      - .offset:         104
        .size:           4
        .value_kind:     hidden_block_count_z
      - .offset:         108
        .size:           2
        .value_kind:     hidden_group_size_x
      - .offset:         110
        .size:           2
        .value_kind:     hidden_group_size_y
      - .offset:         112
        .size:           2
        .value_kind:     hidden_group_size_z
      - .offset:         114
        .size:           2
        .value_kind:     hidden_remainder_x
      - .offset:         116
        .size:           2
        .value_kind:     hidden_remainder_y
      - .offset:         118
        .size:           2
        .value_kind:     hidden_remainder_z
      - .offset:         136
        .size:           8
        .value_kind:     hidden_global_offset_x
      - .offset:         144
        .size:           8
        .value_kind:     hidden_global_offset_y
      - .offset:         152
        .size:           8
        .value_kind:     hidden_global_offset_z
      - .offset:         160
        .size:           2
        .value_kind:     hidden_grid_dims
    .group_segment_fixed_size: 36868
    .kernarg_segment_align: 8
    .kernarg_segment_size: 352
    .language:       OpenCL C
    .language_version:
      - 2
      - 0
    .max_flat_workgroup_size: 256
    .name:           _ZN6thrust23THRUST_200600_302600_NS11hip_rocprim16__set_operations22lookback_set_op_kernelIN7rocprim17ROCPRIM_400000_NS13kernel_configILj256ELj16ELj4294967295EEELb0ENS0_6detail15normal_iteratorINS0_10device_ptrIKiEEEESD_PiSE_lNS0_16discard_iteratorINS0_11use_defaultEEESE_NS0_4lessIiEENS2_23serial_set_intersectionENS5_6detail19lookback_scan_stateIlLb0ELb1EEEEEvT1_T2_T3_T4_T6_T7_T8_T9_PNS0_4pairIT5_SX_EEPSX_T10_NSL_16ordered_block_idIjEE
    .private_segment_fixed_size: 0
    .sgpr_count:     36
    .sgpr_spill_count: 0
    .symbol:         _ZN6thrust23THRUST_200600_302600_NS11hip_rocprim16__set_operations22lookback_set_op_kernelIN7rocprim17ROCPRIM_400000_NS13kernel_configILj256ELj16ELj4294967295EEELb0ENS0_6detail15normal_iteratorINS0_10device_ptrIKiEEEESD_PiSE_lNS0_16discard_iteratorINS0_11use_defaultEEESE_NS0_4lessIiEENS2_23serial_set_intersectionENS5_6detail19lookback_scan_stateIlLb0ELb1EEEEEvT1_T2_T3_T4_T6_T7_T8_T9_PNS0_4pairIT5_SX_EEPSX_T10_NSL_16ordered_block_idIjEE.kd
    .uniform_work_group_size: 1
    .uses_dynamic_stack: false
    .vgpr_count:     73
    .vgpr_spill_count: 0
    .wavefront_size: 64
amdhsa.target:   amdgcn-amd-amdhsa--gfx950
amdhsa.version:
  - 1
  - 2
...

	.end_amdgpu_metadata
